;; amdgpu-corpus repo=ROCm/rocFFT kind=compiled arch=gfx1201 opt=O3
	.text
	.amdgcn_target "amdgcn-amd-amdhsa--gfx1201"
	.amdhsa_code_object_version 6
	.protected	fft_rtc_back_len17_factors_17_wgs_120_tpt_1_dp_op_CI_CI_sbrc_unaligned_dirReg ; -- Begin function fft_rtc_back_len17_factors_17_wgs_120_tpt_1_dp_op_CI_CI_sbrc_unaligned_dirReg
	.globl	fft_rtc_back_len17_factors_17_wgs_120_tpt_1_dp_op_CI_CI_sbrc_unaligned_dirReg
	.p2align	8
	.type	fft_rtc_back_len17_factors_17_wgs_120_tpt_1_dp_op_CI_CI_sbrc_unaligned_dirReg,@function
fft_rtc_back_len17_factors_17_wgs_120_tpt_1_dp_op_CI_CI_sbrc_unaligned_dirReg: ; @fft_rtc_back_len17_factors_17_wgs_120_tpt_1_dp_op_CI_CI_sbrc_unaligned_dirReg
; %bb.0:
	s_load_b256 s[4:11], s[0:1], 0x8
	s_mov_b64 s[34:35], 2
	s_wait_kmcnt 0x0
	s_load_b32 s33, s[6:7], 0x8
	s_load_b128 s[16:19], s[8:9], 0x0
	s_load_b128 s[12:15], s[10:11], 0x0
	s_wait_kmcnt 0x0
	s_add_co_i32 s2, s33, -1
	s_delay_alu instid0(SALU_CYCLE_1) | instskip(NEXT) | instid1(SALU_CYCLE_1)
	s_mul_hi_u32 s2, s2, 0x88888889
	s_lshr_b32 s2, s2, 6
	s_delay_alu instid0(SALU_CYCLE_1) | instskip(NEXT) | instid1(SALU_CYCLE_1)
	s_add_co_i32 s40, s2, 1
	s_cvt_f32_u32 s2, s40
	s_sub_co_i32 s3, 0, s40
	s_delay_alu instid0(SALU_CYCLE_2) | instskip(NEXT) | instid1(TRANS32_DEP_1)
	v_rcp_iflag_f32_e32 v1, s2
	v_readfirstlane_b32 s2, v1
	s_delay_alu instid0(VALU_DEP_1) | instskip(SKIP_1) | instid1(SALU_CYCLE_2)
	s_mul_f32 s2, s2, 0x4f7ffffe
	s_wait_alu 0xfffe
	s_cvt_u32_f32 s2, s2
	s_wait_alu 0xfffe
	s_delay_alu instid0(SALU_CYCLE_2)
	s_mul_i32 s3, s3, s2
	s_wait_alu 0xfffe
	s_mul_hi_u32 s3, s2, s3
	s_wait_alu 0xfffe
	s_add_co_i32 s2, s2, s3
	s_wait_alu 0xfffe
	s_mul_hi_u32 s2, ttmp9, s2
	s_wait_alu 0xfffe
	s_mul_i32 s3, s2, s40
	s_add_co_i32 s15, s2, 1
	s_wait_alu 0xfffe
	s_sub_co_i32 s3, ttmp9, s3
	s_wait_alu 0xfffe
	s_sub_co_i32 s19, s3, s40
	s_cmp_ge_u32 s3, s40
	s_cselect_b32 s2, s15, s2
	s_cselect_b32 s3, s19, s3
	s_wait_alu 0xfffe
	s_add_co_i32 s15, s2, 1
	s_cmp_ge_u32 s3, s40
	s_mov_b32 s3, 0
	s_cselect_b32 s22, s15, s2
	v_cmp_gt_u64_e64 s2, s[4:5], 2
	s_mul_i32 s15, s22, s40
	s_wait_alu 0xfffe
	s_mov_b32 s25, s3
	s_sub_co_i32 s15, ttmp9, s15
	s_delay_alu instid0(SALU_CYCLE_1)
	s_mul_i32 s24, s15, 0x78
	s_and_b32 vcc_lo, exec_lo, s2
	s_mul_i32 s2, s24, s18
	s_mul_u64 s[20:21], s[12:13], s[24:25]
	s_cbranch_vccz .LBB0_8
; %bb.1:
	s_mov_b32 s28, ttmp9
	s_mov_b32 s29, s3
	s_mov_b32 s30, 3
	s_wait_alu 0xfffe
	s_mov_b64 s[26:27], s[2:3]
	s_mov_b32 s2, s22
.LBB0_2:                                ; =>This Inner Loop Header: Depth=1
	s_lshl_b64 s[34:35], s[34:35], 3
	s_mov_b32 s36, s3
	s_add_nc_u64 s[22:23], s[6:7], s[34:35]
	s_load_b64 s[22:23], s[22:23], 0x0
	s_wait_kmcnt 0x0
	s_mov_b32 s37, s23
	s_delay_alu instid0(SALU_CYCLE_1)
	s_cmp_lg_u64 s[36:37], 0
	s_cbranch_scc0 .LBB0_7
; %bb.3:                                ;   in Loop: Header=BB0_2 Depth=1
	s_cvt_f32_u32 s15, s22
	s_cvt_f32_u32 s19, s23
	s_sub_nc_u64 s[42:43], 0, s[22:23]
	s_mov_b32 s37, 0
	s_mov_b32 s47, s3
	s_wait_alu 0xfffe
	s_fmamk_f32 s15, s19, 0x4f800000, s15
	s_wait_alu 0xfffe
	s_delay_alu instid0(SALU_CYCLE_2) | instskip(NEXT) | instid1(TRANS32_DEP_1)
	v_s_rcp_f32 s15, s15
	s_mul_f32 s15, s15, 0x5f7ffffc
	s_wait_alu 0xfffe
	s_delay_alu instid0(SALU_CYCLE_2) | instskip(NEXT) | instid1(SALU_CYCLE_3)
	s_mul_f32 s19, s15, 0x2f800000
	s_trunc_f32 s19, s19
	s_delay_alu instid0(SALU_CYCLE_3) | instskip(SKIP_2) | instid1(SALU_CYCLE_1)
	s_fmamk_f32 s15, s19, 0xcf800000, s15
	s_cvt_u32_f32 s39, s19
	s_wait_alu 0xfffe
	s_cvt_u32_f32 s38, s15
	s_wait_alu 0xfffe
	s_delay_alu instid0(SALU_CYCLE_2)
	s_mul_u64 s[44:45], s[42:43], s[38:39]
	s_wait_alu 0xfffe
	s_mul_hi_u32 s49, s38, s45
	s_mul_i32 s48, s38, s45
	s_mul_hi_u32 s36, s38, s44
	s_mul_i32 s19, s39, s44
	s_add_nc_u64 s[48:49], s[36:37], s[48:49]
	s_mul_hi_u32 s15, s39, s44
	s_mul_hi_u32 s25, s39, s45
	s_add_co_u32 s19, s48, s19
	s_wait_alu 0xfffe
	s_add_co_ci_u32 s46, s49, s15
	s_mul_i32 s44, s39, s45
	s_add_co_ci_u32 s45, s25, 0
	s_wait_alu 0xfffe
	s_add_nc_u64 s[44:45], s[46:47], s[44:45]
	s_wait_alu 0xfffe
	v_add_co_u32 v1, s15, s38, s44
	s_delay_alu instid0(VALU_DEP_1) | instskip(SKIP_1) | instid1(VALU_DEP_1)
	s_cmp_lg_u32 s15, 0
	s_add_co_ci_u32 s39, s39, s45
	v_readfirstlane_b32 s38, v1
	s_mov_b32 s45, s3
	s_wait_alu 0xfffe
	s_delay_alu instid0(VALU_DEP_1)
	s_mul_u64 s[42:43], s[42:43], s[38:39]
	s_wait_alu 0xfffe
	s_mul_hi_u32 s47, s38, s43
	s_mul_i32 s46, s38, s43
	s_mul_hi_u32 s36, s38, s42
	s_mul_i32 s19, s39, s42
	s_add_nc_u64 s[46:47], s[36:37], s[46:47]
	s_mul_hi_u32 s15, s39, s42
	s_mul_hi_u32 s25, s39, s43
	s_add_co_u32 s19, s46, s19
	s_wait_alu 0xfffe
	s_add_co_ci_u32 s44, s47, s15
	s_mul_i32 s42, s39, s43
	s_add_co_ci_u32 s43, s25, 0
	s_wait_alu 0xfffe
	s_add_nc_u64 s[42:43], s[44:45], s[42:43]
	s_mov_b32 s44, s3
	s_wait_alu 0xfffe
	v_add_co_u32 v1, s15, v1, s42
	s_delay_alu instid0(VALU_DEP_1) | instskip(SKIP_1) | instid1(VALU_DEP_1)
	s_cmp_lg_u32 s15, 0
	s_add_co_ci_u32 s19, s39, s43
	v_readfirstlane_b32 s15, v1
	s_mul_hi_u32 s43, s2, s19
	s_mul_i32 s42, s2, s19
	s_mov_b32 s39, s3
	s_delay_alu instid0(VALU_DEP_1)
	s_mul_hi_u32 s36, s2, s15
	s_wait_alu 0xfffe
	s_add_nc_u64 s[42:43], s[36:37], s[42:43]
	s_wait_alu 0xfffe
	s_mov_b32 s38, s43
	s_wait_alu 0xfffe
	s_or_b64 s[38:39], s[38:39], s[44:45]
	s_mov_b32 s38, s43
	s_wait_alu 0xfffe
	s_mul_u64 s[44:45], s[22:23], s[38:39]
	s_add_nc_u64 s[46:47], s[38:39], 1
	s_wait_alu 0xfffe
	v_sub_co_u32 v1, s15, s2, s44
	s_sub_co_i32 s19, 0, s45
	s_cmp_lg_u32 s15, 0
	s_add_nc_u64 s[48:49], s[38:39], 2
	s_delay_alu instid0(VALU_DEP_1) | instskip(SKIP_2) | instid1(VALU_DEP_1)
	v_sub_co_u32 v2, s25, v1, s22
	s_sub_co_ci_u32 s19, s19, s23
	s_cmp_lg_u32 s25, 0
	v_readfirstlane_b32 s25, v2
	s_sub_co_ci_u32 s19, s19, 0
	s_delay_alu instid0(SALU_CYCLE_1) | instskip(SKIP_1) | instid1(VALU_DEP_1)
	s_cmp_ge_u32 s19, s23
	s_cselect_b32 s31, -1, 0
	s_cmp_ge_u32 s25, s22
	s_cselect_b32 s25, -1, 0
	s_cmp_eq_u32 s19, s23
	s_wait_alu 0xfffe
	s_cselect_b32 s19, s25, s31
	s_delay_alu instid0(SALU_CYCLE_1)
	s_cmp_lg_u32 s19, 0
	s_cselect_b32 s19, s48, s46
	s_cselect_b32 s25, s49, s47
	s_cmp_lg_u32 s15, 0
	v_readfirstlane_b32 s15, v1
	s_sub_co_ci_u32 s31, 0, s45
	s_wait_alu 0xfffe
	s_cmp_ge_u32 s31, s23
	s_cselect_b32 s36, -1, 0
	s_cmp_ge_u32 s15, s22
	s_cselect_b32 s15, -1, 0
	s_cmp_eq_u32 s31, s23
	s_wait_alu 0xfffe
	s_cselect_b32 s15, s15, s36
	s_wait_alu 0xfffe
	s_cmp_lg_u32 s15, 0
	s_cselect_b32 s39, s25, s39
	s_cselect_b32 s38, s19, s43
	s_cbranch_execnz .LBB0_5
.LBB0_4:                                ;   in Loop: Header=BB0_2 Depth=1
	v_cvt_f32_u32_e32 v1, s22
	s_sub_co_i32 s19, 0, s22
	s_mov_b32 s39, s3
	s_delay_alu instid0(VALU_DEP_1) | instskip(NEXT) | instid1(TRANS32_DEP_1)
	v_rcp_iflag_f32_e32 v1, v1
	v_mul_f32_e32 v1, 0x4f7ffffe, v1
	s_delay_alu instid0(VALU_DEP_1) | instskip(NEXT) | instid1(VALU_DEP_1)
	v_cvt_u32_f32_e32 v1, v1
	v_readfirstlane_b32 s15, v1
	s_delay_alu instid0(VALU_DEP_1) | instskip(NEXT) | instid1(SALU_CYCLE_1)
	s_mul_i32 s19, s19, s15
	s_mul_hi_u32 s19, s15, s19
	s_delay_alu instid0(SALU_CYCLE_1)
	s_add_co_i32 s15, s15, s19
	s_wait_alu 0xfffe
	s_mul_hi_u32 s15, s2, s15
	s_wait_alu 0xfffe
	s_mul_i32 s19, s15, s22
	s_add_co_i32 s25, s15, 1
	s_sub_co_i32 s19, s2, s19
	s_delay_alu instid0(SALU_CYCLE_1)
	s_sub_co_i32 s31, s19, s22
	s_cmp_ge_u32 s19, s22
	s_cselect_b32 s15, s25, s15
	s_wait_alu 0xfffe
	s_cselect_b32 s19, s31, s19
	s_add_co_i32 s25, s15, 1
	s_cmp_ge_u32 s19, s22
	s_cselect_b32 s38, s25, s15
.LBB0_5:                                ;   in Loop: Header=BB0_2 Depth=1
	s_add_nc_u64 s[36:37], s[8:9], s[34:35]
	s_add_nc_u64 s[34:35], s[10:11], s[34:35]
	s_load_b64 s[36:37], s[36:37], 0x0
	s_load_b64 s[42:43], s[34:35], 0x0
	s_mov_b32 s31, s3
	s_mul_u64 s[34:35], s[38:39], s[22:23]
	s_wait_alu 0xfffe
	v_cmp_ge_u64_e64 s15, s[30:31], s[4:5]
	s_mul_i32 s40, s40, s22
	s_sub_nc_u64 s[22:23], s[2:3], s[34:35]
	s_mov_b64 s[34:35], s[30:31]
	s_add_co_i32 s30, s30, 1
	s_delay_alu instid0(VALU_DEP_1)
	s_and_b32 vcc_lo, exec_lo, s15
	s_wait_kmcnt 0x0
	s_wait_alu 0xfffe
	s_mul_u64 s[36:37], s[36:37], s[22:23]
	s_mul_u64 s[22:23], s[42:43], s[22:23]
	s_add_nc_u64 s[26:27], s[36:37], s[26:27]
	s_wait_alu 0xfffe
	s_add_nc_u64 s[20:21], s[22:23], s[20:21]
	s_cbranch_vccnz .LBB0_9
; %bb.6:                                ;   in Loop: Header=BB0_2 Depth=1
	s_mov_b32 s2, s38
	s_branch .LBB0_2
.LBB0_7:                                ;   in Loop: Header=BB0_2 Depth=1
                                        ; implicit-def: $sgpr38_sgpr39
	s_branch .LBB0_4
.LBB0_8:
	s_wait_alu 0xfffe
	s_mov_b64 s[26:27], s[2:3]
	s_branch .LBB0_10
.LBB0_9:
	s_cvt_f32_u32 s2, s40
	s_sub_co_i32 s3, 0, s40
	s_wait_alu 0xfffe
	s_delay_alu instid0(SALU_CYCLE_1) | instskip(NEXT) | instid1(TRANS32_DEP_1)
	v_rcp_iflag_f32_e32 v1, s2
	v_readfirstlane_b32 s2, v1
	s_delay_alu instid0(VALU_DEP_1) | instskip(SKIP_1) | instid1(SALU_CYCLE_2)
	s_mul_f32 s2, s2, 0x4f7ffffe
	s_wait_alu 0xfffe
	s_cvt_u32_f32 s2, s2
	s_wait_alu 0xfffe
	s_delay_alu instid0(SALU_CYCLE_2)
	s_mul_i32 s3, s3, s2
	s_wait_alu 0xfffe
	s_mul_hi_u32 s6, s2, s3
	s_mov_b32 s3, 0
	s_add_co_i32 s2, s2, s6
	s_wait_alu 0xfffe
	s_mul_u64 s[2:3], s[28:29], s[2:3]
	s_wait_alu 0xfffe
	s_mul_i32 s2, s3, s40
	s_add_co_i32 s6, s3, 1
	s_wait_alu 0xfffe
	s_sub_co_i32 s2, ttmp9, s2
	s_wait_alu 0xfffe
	s_sub_co_i32 s7, s2, s40
	s_cmp_ge_u32 s2, s40
	s_cselect_b32 s3, s6, s3
	s_cselect_b32 s2, s7, s2
	s_wait_alu 0xfffe
	s_add_co_i32 s6, s3, 1
	s_cmp_ge_u32 s2, s40
	s_cselect_b32 s22, s6, s3
.LBB0_10:
	s_lshl_b64 s[4:5], s[4:5], 3
	s_load_b128 s[0:3], s[0:1], 0x58
	s_add_nc_u64 s[6:7], s[8:9], s[4:5]
	s_add_nc_u64 s[4:5], s[10:11], s[4:5]
	s_load_b64 s[6:7], s[6:7], 0x0
	s_load_b64 s[4:5], s[4:5], 0x0
	s_add_co_i32 s8, s24, 0x78
	s_mov_b32 s23, 0
	s_cmp_le_u32 s8, s33
	s_mov_b32 s8, -1
	s_cselect_b32 s10, -1, 0
	s_delay_alu instid0(SALU_CYCLE_1) | instskip(SKIP_3) | instid1(SALU_CYCLE_1)
	s_and_b32 vcc_lo, exec_lo, s10
	s_wait_kmcnt 0x0
	s_wait_alu 0xfffe
	s_mul_u64 s[6:7], s[6:7], s[22:23]
	s_add_nc_u64 s[6:7], s[6:7], s[26:27]
	s_cbranch_vccnz .LBB0_14
; %bb.11:
	v_dual_mov_b32 v2, 0 :: v_dual_mov_b32 v3, v0
	s_lshl_b64 s[8:9], s[6:7], 4
	s_mov_b32 s11, s23
	s_add_nc_u64 s[8:9], s[0:1], s[8:9]
.LBB0_12:                               ; =>This Inner Loop Header: Depth=1
	s_delay_alu instid0(VALU_DEP_1) | instskip(NEXT) | instid1(VALU_DEP_1)
	v_and_b32_e32 v1, 0xffff, v3
	v_mul_u32_u24_e32 v1, 0xf0f1, v1
	s_delay_alu instid0(VALU_DEP_1) | instskip(NEXT) | instid1(VALU_DEP_1)
	v_lshrrev_b32_e32 v8, 20, v1
	v_mul_lo_u16 v1, v8, 17
	s_delay_alu instid0(VALU_DEP_1) | instskip(SKIP_1) | instid1(VALU_DEP_2)
	v_sub_nc_u16 v9, v3, v1
	v_add_nc_u32_e32 v3, 0x78, v3
	v_and_b32_e32 v6, 0xffff, v9
	s_delay_alu instid0(VALU_DEP_1) | instskip(NEXT) | instid1(VALU_DEP_1)
	v_mad_co_u64_u32 v[4:5], null, s16, v6, 0
	v_mov_b32_e32 v1, v5
	s_delay_alu instid0(VALU_DEP_1) | instskip(SKIP_1) | instid1(VALU_DEP_2)
	v_mad_co_u64_u32 v[5:6], null, s17, v6, v[1:2]
	v_mul_lo_u32 v1, s18, v8
	v_lshlrev_b64_e32 v[4:5], 4, v[4:5]
	s_delay_alu instid0(VALU_DEP_2) | instskip(NEXT) | instid1(VALU_DEP_2)
	v_lshlrev_b64_e32 v[6:7], 4, v[1:2]
	v_add_co_u32 v1, vcc_lo, s8, v4
	s_wait_alu 0xfffd
	s_delay_alu instid0(VALU_DEP_3) | instskip(NEXT) | instid1(VALU_DEP_2)
	v_add_co_ci_u32_e32 v5, vcc_lo, s9, v5, vcc_lo
	v_add_co_u32 v4, vcc_lo, v1, v6
	s_wait_alu 0xfffd
	s_delay_alu instid0(VALU_DEP_2)
	v_add_co_ci_u32_e32 v5, vcc_lo, v5, v7, vcc_lo
	v_mad_u16 v1, 0x78, v9, v8
	v_cmp_lt_u32_e32 vcc_lo, 0x7f7, v3
	global_load_b128 v[4:7], v[4:5], off
	v_and_b32_e32 v1, 0xffff, v1
	s_or_b32 s11, vcc_lo, s11
	s_delay_alu instid0(VALU_DEP_1)
	v_lshl_add_u32 v1, v1, 4, 0
	s_wait_loadcnt 0x0
	ds_store_b128 v1, v[4:7]
	s_and_not1_b32 exec_lo, exec_lo, s11
	s_cbranch_execnz .LBB0_12
; %bb.13:
	s_or_b32 exec_lo, exec_lo, s11
	s_mov_b32 s8, 0
.LBB0_14:
	v_and_b32_e32 v11, 0xffff, v0
	s_wait_alu 0xfffe
	s_and_b32 vcc_lo, exec_lo, s8
	s_wait_alu 0xfffe
	s_cbranch_vccz .LBB0_16
; %bb.15:
	v_add_nc_u16 v1, v0, 0x78
	v_mul_u32_u24_e32 v3, 0xf10, v11
	v_add_nc_u16 v5, v0, 0xf0
	v_mov_b32_e32 v10, 0
	v_add_nc_u16 v21, v0, 0x168
	v_and_b32_e32 v2, 0xffff, v1
	v_lshrrev_b32_e32 v12, 16, v3
	v_and_b32_e32 v3, 0xffff, v5
	v_add_nc_u16 v23, v0, 0x258
	v_and_b32_e32 v6, 0xffff, v21
	v_mul_u32_u24_e32 v2, 0xf10, v2
	v_add_nc_u16 v22, v0, 0x1e0
	v_mul_lo_u32 v9, s18, v12
	v_and_b32_e32 v17, 0xffff, v23
	v_mul_u32_u24_e32 v6, 0xf10, v6
	v_lshrrev_b32_e32 v13, 16, v2
	v_mul_lo_u16 v2, v12, 17
	s_lshl_b64 s[6:7], s[6:7], 4
	v_mul_u32_u24_e32 v24, 0xf10, v17
	v_lshrrev_b32_e32 v17, 16, v6
	v_mul_lo_u16 v4, v13, 17
	v_sub_nc_u16 v14, v0, v2
	v_mul_u32_u24_e32 v2, 0xf10, v3
	s_add_nc_u64 s[0:1], s[0:1], s[6:7]
	v_add_nc_u16 v36, v0, 0x2d0
	v_sub_nc_u16 v15, v1, v4
	v_and_b32_e32 v8, 0xffff, v14
	v_lshrrev_b32_e32 v16, 16, v2
	v_add_nc_u16 v38, v0, 0x348
	v_add_nc_u16 v40, v0, 0x3c0
	v_and_b32_e32 v19, 0xffff, v15
	v_mad_co_u64_u32 v[1:2], null, s16, v8, 0
	v_mul_lo_u16 v18, v16, 17
	v_and_b32_e32 v39, 0xffff, v38
	s_delay_alu instid0(VALU_DEP_4) | instskip(SKIP_1) | instid1(VALU_DEP_4)
	v_mad_co_u64_u32 v[3:4], null, s16, v19, 0
	v_add_nc_u16 v42, v0, 0x438
	v_sub_nc_u16 v18, v5, v18
	v_add_nc_u16 v43, v0, 0x4b0
	v_add_nc_u16 v45, v0, 0x528
	;; [unrolled: 1-line block ×4, first 2 shown]
	v_mad_co_u64_u32 v[5:6], null, s17, v8, v[2:3]
	v_and_b32_e32 v7, 0xffff, v22
	v_and_b32_e32 v46, 0xffff, v45
	v_add_nc_u16 v53, v0, 0x708
	v_or_b32_e32 v54, 0x780, v0
	s_delay_alu instid0(VALU_DEP_3) | instskip(SKIP_4) | instid1(VALU_DEP_4)
	v_mul_u32_u24_e32 v46, 0xf10, v46
	v_mov_b32_e32 v2, v5
	v_mul_u32_u24_e32 v20, 0xf10, v7
	v_lshlrev_b64_e32 v[6:7], 4, v[9:10]
	v_mad_co_u64_u32 v[8:9], null, s17, v19, v[4:5]
	v_lshlrev_b64_e32 v[1:2], 4, v[1:2]
	v_mul_lo_u32 v9, s18, v13
	v_lshrrev_b32_e32 v19, 16, v20
	v_lshrrev_b32_e32 v20, 16, v24
	v_mul_lo_u16 v24, v17, 17
	v_lshrrev_b32_e32 v93, 16, v46
	v_mov_b32_e32 v4, v8
	v_add_co_u32 v1, vcc_lo, s0, v1
	s_wait_alu 0xfffd
	v_add_co_ci_u32_e32 v2, vcc_lo, s1, v2, vcc_lo
	s_delay_alu instid0(VALU_DEP_3)
	v_lshlrev_b64_e32 v[3:4], 4, v[3:4]
	v_lshlrev_b64_e32 v[8:9], 4, v[9:10]
	v_mul_lo_u16 v28, v19, 17
	v_sub_nc_u16 v21, v21, v24
	v_and_b32_e32 v24, 0xffff, v36
	v_add_co_u32 v3, vcc_lo, s0, v3
	s_wait_alu 0xfffd
	v_add_co_ci_u32_e32 v4, vcc_lo, s1, v4, vcc_lo
	v_add_co_u32 v1, vcc_lo, v1, v6
	s_wait_alu 0xfffd
	v_add_co_ci_u32_e32 v2, vcc_lo, v2, v7, vcc_lo
	;; [unrolled: 3-line block ×3, first 2 shown]
	v_mul_lo_u16 v9, v20, 17
	v_sub_nc_u16 v22, v22, v28
	v_and_b32_e32 v33, 0xffff, v21
	v_mul_u32_u24_e32 v24, 0xf10, v24
	s_delay_alu instid0(VALU_DEP_4) | instskip(NEXT) | instid1(VALU_DEP_4)
	v_sub_nc_u16 v23, v23, v9
	v_and_b32_e32 v35, 0xffff, v22
	v_mul_lo_u32 v9, s18, v16
	s_delay_alu instid0(VALU_DEP_4) | instskip(NEXT) | instid1(VALU_DEP_4)
	v_lshrrev_b32_e32 v24, 16, v24
	v_and_b32_e32 v37, 0xffff, v23
	s_delay_alu instid0(VALU_DEP_4) | instskip(NEXT) | instid1(VALU_DEP_2)
	v_mad_co_u64_u32 v[29:30], null, s16, v35, 0
	v_mad_co_u64_u32 v[31:32], null, s16, v37, 0
	v_and_b32_e32 v27, 0xffff, v18
	s_delay_alu instid0(VALU_DEP_1) | instskip(NEXT) | instid1(VALU_DEP_1)
	v_mad_co_u64_u32 v[25:26], null, s16, v27, 0
	v_mov_b32_e32 v5, v26
	s_delay_alu instid0(VALU_DEP_1)
	v_mad_co_u64_u32 v[26:27], null, s17, v27, v[5:6]
	v_mad_co_u64_u32 v[27:28], null, s16, v33, 0
	s_clause 0x1
	global_load_b128 v[1:4], v[1:2], off
	global_load_b128 v[5:8], v[6:7], off
	v_lshlrev_b64_e32 v[25:26], 4, v[25:26]
	v_mad_co_u64_u32 v[33:34], null, s17, v33, v[28:29]
	v_mov_b32_e32 v28, v30
	v_mul_lo_u16 v30, v24, 17
	s_delay_alu instid0(VALU_DEP_2) | instskip(SKIP_1) | instid1(VALU_DEP_3)
	v_mad_co_u64_u32 v[34:35], null, s17, v35, v[28:29]
	v_mov_b32_e32 v28, v32
	v_sub_nc_u16 v85, v36, v30
	v_mul_u32_u24_e32 v30, 0xf10, v39
	v_and_b32_e32 v32, 0xffff, v40
	v_and_b32_e32 v39, 0xffff, v43
	v_mad_co_u64_u32 v[35:36], null, s17, v37, v[28:29]
	s_delay_alu instid0(VALU_DEP_4) | instskip(SKIP_3) | instid1(VALU_DEP_4)
	v_lshrrev_b32_e32 v86, 16, v30
	v_and_b32_e32 v41, 0xffff, v85
	v_mul_u32_u24_e32 v30, 0xf10, v32
	v_mov_b32_e32 v28, v33
	v_mul_lo_u16 v33, v86, 17
	s_delay_alu instid0(VALU_DEP_4) | instskip(NEXT) | instid1(VALU_DEP_4)
	v_mad_co_u64_u32 v[36:37], null, s16, v41, 0
	v_lshrrev_b32_e32 v87, 16, v30
	v_mov_b32_e32 v32, v35
	s_delay_alu instid0(VALU_DEP_4) | instskip(SKIP_1) | instid1(VALU_DEP_4)
	v_sub_nc_u16 v88, v38, v33
	v_dual_mov_b32 v30, v34 :: v_dual_and_b32 v35, 0xffff, v42
	v_mul_lo_u16 v34, v87, 17
	v_mov_b32_e32 v33, v37
	s_delay_alu instid0(VALU_DEP_4) | instskip(NEXT) | instid1(VALU_DEP_4)
	v_and_b32_e32 v37, 0xffff, v88
	v_mul_u32_u24_e32 v38, 0xf10, v35
	v_lshlrev_b64_e32 v[27:28], 4, v[27:28]
	v_sub_nc_u16 v89, v40, v34
	v_mul_u32_u24_e32 v40, 0xf10, v39
	v_mad_co_u64_u32 v[34:35], null, s16, v37, 0
	v_lshrrev_b32_e32 v90, 16, v38
	v_lshlrev_b64_e32 v[29:30], 4, v[29:30]
	s_delay_alu instid0(VALU_DEP_4) | instskip(SKIP_1) | instid1(VALU_DEP_4)
	v_lshrrev_b32_e32 v91, 16, v40
	v_lshlrev_b64_e32 v[31:32], 4, v[31:32]
	v_mul_lo_u16 v47, v90, 17
	v_mad_co_u64_u32 v[40:41], null, s17, v41, v[33:34]
	v_mov_b32_e32 v33, v35
	v_mul_lo_u16 v35, v91, 17
	s_delay_alu instid0(VALU_DEP_4) | instskip(NEXT) | instid1(VALU_DEP_3)
	v_sub_nc_u16 v92, v42, v47
	v_mad_co_u64_u32 v[41:42], null, s17, v37, v[33:34]
	v_and_b32_e32 v44, 0xffff, v89
	s_delay_alu instid0(VALU_DEP_4) | instskip(SKIP_3) | instid1(VALU_DEP_3)
	v_sub_nc_u16 v94, v43, v35
	v_mul_lo_u16 v35, v93, 17
	v_and_b32_e32 v47, 0xffff, v92
	v_mov_b32_e32 v37, v40
	v_sub_nc_u16 v95, v45, v35
	v_mov_b32_e32 v35, v41
	v_mad_co_u64_u32 v[38:39], null, s16, v44, 0
	s_delay_alu instid0(VALU_DEP_4) | instskip(NEXT) | instid1(VALU_DEP_4)
	v_lshlrev_b64_e32 v[36:37], 4, v[36:37]
	v_and_b32_e32 v49, 0xffff, v95
	s_delay_alu instid0(VALU_DEP_3) | instskip(NEXT) | instid1(VALU_DEP_2)
	v_mov_b32_e32 v33, v39
	v_mad_co_u64_u32 v[40:41], null, s16, v49, 0
	s_delay_alu instid0(VALU_DEP_2) | instskip(SKIP_1) | instid1(VALU_DEP_2)
	v_mad_co_u64_u32 v[42:43], null, s17, v44, v[33:34]
	v_mad_co_u64_u32 v[43:44], null, s16, v47, 0
	v_dual_mov_b32 v39, v42 :: v_dual_and_b32 v48, 0xffff, v94
	s_delay_alu instid0(VALU_DEP_2) | instskip(NEXT) | instid1(VALU_DEP_2)
	v_mov_b32_e32 v33, v44
	v_mad_co_u64_u32 v[45:46], null, s16, v48, 0
	v_add_nc_u16 v44, v0, 0x5a0
	s_delay_alu instid0(VALU_DEP_4) | instskip(NEXT) | instid1(VALU_DEP_2)
	v_lshlrev_b64_e32 v[38:39], 4, v[38:39]
	v_and_b32_e32 v50, 0xffff, v44
	s_delay_alu instid0(VALU_DEP_4) | instskip(SKIP_2) | instid1(VALU_DEP_3)
	v_mov_b32_e32 v42, v46
	v_mad_co_u64_u32 v[46:47], null, s17, v47, v[33:34]
	v_mov_b32_e32 v33, v41
	v_mad_co_u64_u32 v[47:48], null, s17, v48, v[42:43]
	v_mul_u32_u24_e32 v48, 0xf10, v50
	v_and_b32_e32 v50, 0xffff, v51
	s_delay_alu instid0(VALU_DEP_4) | instskip(SKIP_1) | instid1(VALU_DEP_4)
	v_mad_co_u64_u32 v[41:42], null, s17, v49, v[33:34]
	v_and_b32_e32 v42, 0xffff, v52
	v_lshrrev_b32_e32 v96, 16, v48
	s_delay_alu instid0(VALU_DEP_4) | instskip(SKIP_1) | instid1(VALU_DEP_3)
	v_mul_u32_u24_e32 v33, 0xf10, v50
	v_and_b32_e32 v48, 0xffff, v53
	v_mul_lo_u16 v49, v96, 17
	s_delay_alu instid0(VALU_DEP_3) | instskip(SKIP_1) | instid1(VALU_DEP_4)
	v_lshrrev_b32_e32 v97, 16, v33
	v_mul_u32_u24_e32 v33, 0xf10, v42
	v_mul_u32_u24_e32 v42, 0xf10, v48
	v_and_b32_e32 v48, 0xffff, v54
	v_sub_nc_u16 v98, v44, v49
	v_mul_lo_u16 v44, v97, 17
	v_lshrrev_b32_e32 v99, 16, v33
	v_lshrrev_b32_e32 v100, 16, v42
	v_mul_u32_u24_e32 v33, 0xf10, v48
	v_lshlrev_b64_e32 v[40:41], 4, v[40:41]
	v_sub_nc_u16 v101, v51, v44
	v_mul_lo_u16 v42, v99, 17
	v_mul_lo_u16 v44, v100, 17
	v_lshrrev_b32_e32 v102, 16, v33
	s_delay_alu instid0(VALU_DEP_4) | instskip(NEXT) | instid1(VALU_DEP_4)
	v_and_b32_e32 v59, 0xffff, v101
	v_sub_nc_u16 v103, v52, v42
	s_delay_alu instid0(VALU_DEP_4) | instskip(NEXT) | instid1(VALU_DEP_4)
	v_sub_nc_u16 v104, v53, v44
	v_mul_lo_u16 v33, v102, 17
	s_delay_alu instid0(VALU_DEP_4) | instskip(NEXT) | instid1(VALU_DEP_4)
	v_mad_co_u64_u32 v[50:51], null, s16, v59, 0
	v_and_b32_e32 v44, 0xffff, v103
	s_delay_alu instid0(VALU_DEP_3) | instskip(SKIP_2) | instid1(VALU_DEP_4)
	v_sub_nc_u16 v105, v54, v33
	v_lshlrev_b64_e32 v[54:55], 4, v[9:10]
	v_mul_lo_u32 v9, s18, v17
	v_mad_co_u64_u32 v[52:53], null, s16, v44, 0
	s_delay_alu instid0(VALU_DEP_4) | instskip(NEXT) | instid1(VALU_DEP_1)
	v_dual_mov_b32 v42, v51 :: v_dual_and_b32 v63, 0xffff, v105
	v_mad_co_u64_u32 v[59:60], null, s17, v59, v[42:43]
	v_and_b32_e32 v56, 0xffff, v98
	s_delay_alu instid0(VALU_DEP_3) | instskip(NEXT) | instid1(VALU_DEP_3)
	v_mad_co_u64_u32 v[67:68], null, s16, v63, 0
	v_mov_b32_e32 v51, v59
	s_delay_alu instid0(VALU_DEP_3) | instskip(NEXT) | instid1(VALU_DEP_1)
	v_mad_co_u64_u32 v[48:49], null, s16, v56, 0
	v_mov_b32_e32 v33, v49
	v_and_b32_e32 v49, 0xffff, v104
	s_delay_alu instid0(VALU_DEP_2) | instskip(NEXT) | instid1(VALU_DEP_2)
	v_mad_co_u64_u32 v[56:57], null, s17, v56, v[33:34]
	v_mad_co_u64_u32 v[65:66], null, s16, v49, 0
	v_mov_b32_e32 v33, v53
	v_lshlrev_b64_e32 v[57:58], 4, v[9:10]
	v_mul_lo_u32 v9, s18, v19
	s_delay_alu instid0(VALU_DEP_3) | instskip(SKIP_4) | instid1(VALU_DEP_4)
	v_mad_co_u64_u32 v[60:61], null, s17, v44, v[33:34]
	v_dual_mov_b32 v42, v66 :: v_dual_mov_b32 v33, v68
	v_mov_b32_e32 v44, v46
	v_mov_b32_e32 v46, v47
	v_lshlrev_b64_e32 v[61:62], 4, v[9:10]
	v_mad_co_u64_u32 v[68:69], null, s17, v49, v[42:43]
	v_mov_b32_e32 v49, v56
	v_mad_co_u64_u32 v[69:70], null, s17, v63, v[33:34]
	v_mov_b32_e32 v53, v60
	v_lshlrev_b64_e32 v[33:34], 4, v[34:35]
	v_add_co_u32 v35, vcc_lo, s0, v25
	v_lshlrev_b64_e32 v[42:43], 4, v[43:44]
	v_lshlrev_b64_e32 v[44:45], 4, v[45:46]
	v_lshlrev_b64_e32 v[46:47], 4, v[48:49]
	v_lshlrev_b64_e32 v[48:49], 4, v[50:51]
	s_wait_alu 0xfffd
	v_add_co_ci_u32_e32 v50, vcc_lo, s1, v26, vcc_lo
	v_add_co_u32 v51, vcc_lo, s0, v27
	v_mul_lo_u32 v9, s18, v20
	v_lshlrev_b64_e32 v[70:71], 4, v[52:53]
	s_wait_alu 0xfffd
	v_add_co_ci_u32_e32 v52, vcc_lo, s1, v28, vcc_lo
	v_add_co_u32 v53, vcc_lo, s0, v29
	s_wait_alu 0xfffd
	v_add_co_ci_u32_e32 v56, vcc_lo, s1, v30, vcc_lo
	v_add_co_u32 v31, vcc_lo, s0, v31
	s_wait_alu 0xfffd
	v_add_co_ci_u32_e32 v32, vcc_lo, s1, v32, vcc_lo
	v_lshlrev_b64_e32 v[59:60], 4, v[9:10]
	v_mul_lo_u32 v9, s18, v24
	v_add_co_u32 v63, vcc_lo, s0, v36
	s_wait_alu 0xfffd
	v_add_co_ci_u32_e32 v64, vcc_lo, s1, v37, vcc_lo
	v_add_co_u32 v66, vcc_lo, s0, v33
	s_wait_alu 0xfffd
	v_add_co_ci_u32_e32 v72, vcc_lo, s1, v34, vcc_lo
	;; [unrolled: 3-line block ×3, first 2 shown]
	v_lshlrev_b64_e32 v[25:26], 4, v[9:10]
	v_mul_lo_u32 v9, s18, v86
	v_add_co_u32 v75, vcc_lo, s0, v42
	s_wait_alu 0xfffd
	v_add_co_ci_u32_e32 v76, vcc_lo, s1, v43, vcc_lo
	v_add_co_u32 v77, vcc_lo, s0, v44
	s_wait_alu 0xfffd
	v_add_co_ci_u32_e32 v78, vcc_lo, s1, v45, vcc_lo
	v_add_co_u32 v79, vcc_lo, s0, v40
	v_lshlrev_b64_e32 v[33:34], 4, v[9:10]
	v_mul_lo_u32 v9, s18, v87
	s_wait_alu 0xfffd
	v_add_co_ci_u32_e32 v80, vcc_lo, s1, v41, vcc_lo
	v_add_co_u32 v81, vcc_lo, s0, v46
	s_wait_alu 0xfffd
	v_add_co_ci_u32_e32 v82, vcc_lo, s1, v47, vcc_lo
	v_add_co_u32 v83, vcc_lo, s0, v48
	;; [unrolled: 3-line block ×3, first 2 shown]
	v_lshlrev_b64_e32 v[35:36], 4, v[9:10]
	v_mul_lo_u32 v9, s18, v90
	s_wait_alu 0xfffd
	v_add_co_ci_u32_e32 v28, vcc_lo, v50, v55, vcc_lo
	v_add_co_u32 v29, vcc_lo, v51, v57
	s_wait_alu 0xfffd
	v_add_co_ci_u32_e32 v30, vcc_lo, v52, v58, vcc_lo
	v_add_co_u32 v37, vcc_lo, v53, v61
	v_lshlrev_b64_e32 v[41:42], 4, v[9:10]
	v_mul_lo_u32 v9, s18, v91
	s_wait_alu 0xfffd
	v_add_co_ci_u32_e32 v38, vcc_lo, v56, v62, vcc_lo
	v_add_co_u32 v39, vcc_lo, v31, v59
	s_wait_alu 0xfffd
	v_add_co_ci_u32_e32 v40, vcc_lo, v32, v60, vcc_lo
	v_add_co_u32 v43, vcc_lo, v63, v25
	;; [unrolled: 8-line block ×4, first 2 shown]
	v_lshlrev_b64_e32 v[59:60], 4, v[9:10]
	v_mul_lo_u32 v9, s18, v97
	s_wait_alu 0xfffd
	v_add_co_ci_u32_e32 v58, vcc_lo, v78, v46, vcc_lo
	v_add_co_u32 v61, vcc_lo, v79, v51
	s_clause 0x3
	global_load_b128 v[25:28], v[27:28], off
	global_load_b128 v[29:32], v[29:30], off
	;; [unrolled: 1-line block ×4, first 2 shown]
	s_wait_alu 0xfffd
	v_add_co_ci_u32_e32 v62, vcc_lo, v80, v52, vcc_lo
	v_lshlrev_b64_e32 v[72:73], 4, v[9:10]
	v_mul_lo_u32 v9, s18, v99
	v_add_co_u32 v74, vcc_lo, v81, v59
	s_clause 0x3
	global_load_b128 v[41:44], v[43:44], off
	global_load_b128 v[45:48], v[47:48], off
	;; [unrolled: 1-line block ×4, first 2 shown]
	s_wait_alu 0xfffd
	v_add_co_ci_u32_e32 v75, vcc_lo, v82, v60, vcc_lo
	v_add_co_u32 v72, vcc_lo, v83, v72
	v_lshlrev_b64_e32 v[76:77], 4, v[9:10]
	v_mul_lo_u32 v9, s18, v100
	s_wait_alu 0xfffd
	v_add_co_ci_u32_e32 v73, vcc_lo, v84, v73, vcc_lo
	v_mov_b32_e32 v66, v68
	v_add_co_u32 v70, vcc_lo, s0, v70
	v_mov_b32_e32 v68, v69
	s_wait_alu 0xfffd
	v_add_co_ci_u32_e32 v71, vcc_lo, s1, v71, vcc_lo
	v_lshlrev_b64_e32 v[65:66], 4, v[65:66]
	v_add_co_u32 v76, vcc_lo, v70, v76
	v_lshlrev_b64_e32 v[69:70], 4, v[9:10]
	v_mul_lo_u32 v9, s18, v102
	s_clause 0x1
	global_load_b128 v[57:60], v[57:58], off
	global_load_b128 v[61:64], v[61:62], off
	v_lshlrev_b64_e32 v[67:68], 4, v[67:68]
	s_wait_alu 0xfffd
	v_add_co_ci_u32_e32 v77, vcc_lo, v71, v77, vcc_lo
	v_add_co_u32 v65, vcc_lo, s0, v65
	s_wait_alu 0xfffd
	v_add_co_ci_u32_e32 v66, vcc_lo, s1, v66, vcc_lo
	v_add_co_u32 v67, vcc_lo, s0, v67
	v_lshlrev_b64_e32 v[9:10], 4, v[9:10]
	s_wait_alu 0xfffd
	v_add_co_ci_u32_e32 v68, vcc_lo, s1, v68, vcc_lo
	v_add_co_u32 v78, vcc_lo, v65, v69
	s_wait_alu 0xfffd
	v_add_co_ci_u32_e32 v79, vcc_lo, v66, v70, vcc_lo
	v_add_co_u32 v9, vcc_lo, v67, v9
	s_wait_alu 0xfffd
	v_add_co_ci_u32_e32 v10, vcc_lo, v68, v10, vcc_lo
	s_clause 0x4
	global_load_b128 v[65:68], v[74:75], off
	global_load_b128 v[69:72], v[72:73], off
	;; [unrolled: 1-line block ×5, first 2 shown]
	v_mul_lo_u16 v9, 0x78, v14
	v_mad_u16 v10, 0x78, v15, v13
	s_delay_alu instid0(VALU_DEP_2) | instskip(NEXT) | instid1(VALU_DEP_2)
	v_or_b32_e32 v9, v9, v12
	v_and_b32_e32 v10, 0xffff, v10
	s_delay_alu instid0(VALU_DEP_2) | instskip(NEXT) | instid1(VALU_DEP_2)
	v_and_b32_e32 v9, 0xffff, v9
	v_lshl_add_u32 v10, v10, 4, 0
	s_delay_alu instid0(VALU_DEP_2)
	v_lshl_add_u32 v9, v9, 4, 0
	s_wait_loadcnt 0x10
	ds_store_b128 v9, v[1:4]
	s_wait_loadcnt 0xf
	ds_store_b128 v10, v[5:8]
	v_mad_u16 v1, 0x78, v18, v16
	v_mad_u16 v2, 0x78, v21, v17
	v_mad_u16 v3, 0x78, v22, v19
	v_mad_u16 v4, 0x78, v23, v20
	v_mad_u16 v5, 0x78, v85, v24
	v_and_b32_e32 v1, 0xffff, v1
	v_and_b32_e32 v2, 0xffff, v2
	v_and_b32_e32 v3, 0xffff, v3
	v_and_b32_e32 v4, 0xffff, v4
	v_and_b32_e32 v5, 0xffff, v5
	v_lshl_add_u32 v1, v1, 4, 0
	v_lshl_add_u32 v2, v2, 4, 0
	v_lshl_add_u32 v3, v3, 4, 0
	v_lshl_add_u32 v4, v4, 4, 0
	v_lshl_add_u32 v5, v5, 4, 0
	s_wait_loadcnt 0xe
	ds_store_b128 v1, v[25:28]
	s_wait_loadcnt 0xd
	ds_store_b128 v2, v[29:32]
	s_wait_loadcnt 0xc
	ds_store_b128 v3, v[33:36]
	s_wait_loadcnt 0xb
	ds_store_b128 v4, v[37:40]
	s_wait_loadcnt 0xa
	ds_store_b128 v5, v[41:44]
	v_mad_u16 v1, 0x78, v88, v86
	v_mad_u16 v2, 0x78, v89, v87
	v_mad_u16 v3, 0x78, v92, v90
	v_mad_u16 v4, 0x78, v94, v91
	v_mad_u16 v5, 0x78, v95, v93
	v_and_b32_e32 v1, 0xffff, v1
	v_and_b32_e32 v2, 0xffff, v2
	v_and_b32_e32 v3, 0xffff, v3
	v_and_b32_e32 v4, 0xffff, v4
	v_and_b32_e32 v5, 0xffff, v5
	v_lshl_add_u32 v1, v1, 4, 0
	v_lshl_add_u32 v2, v2, 4, 0
	v_lshl_add_u32 v3, v3, 4, 0
	v_lshl_add_u32 v4, v4, 4, 0
	v_lshl_add_u32 v5, v5, 4, 0
	s_wait_loadcnt 0x9
	ds_store_b128 v1, v[45:48]
	s_wait_loadcnt 0x8
	ds_store_b128 v2, v[49:52]
	s_wait_loadcnt 0x7
	ds_store_b128 v3, v[53:56]
	s_wait_loadcnt 0x6
	ds_store_b128 v4, v[57:60]
	s_wait_loadcnt 0x5
	ds_store_b128 v5, v[61:64]
	v_mad_u16 v1, 0x78, v98, v96
	v_mad_u16 v2, 0x78, v101, v97
	v_mad_u16 v3, 0x78, v103, v99
	v_mad_u16 v4, 0x78, v104, v100
	v_mad_u16 v5, 0x78, v105, v102
	v_and_b32_e32 v1, 0xffff, v1
	v_and_b32_e32 v2, 0xffff, v2
	v_and_b32_e32 v3, 0xffff, v3
	v_and_b32_e32 v4, 0xffff, v4
	v_and_b32_e32 v5, 0xffff, v5
	v_lshl_add_u32 v1, v1, 4, 0
	v_lshl_add_u32 v2, v2, 4, 0
	v_lshl_add_u32 v3, v3, 4, 0
	v_lshl_add_u32 v4, v4, 4, 0
	v_lshl_add_u32 v5, v5, 4, 0
	s_wait_loadcnt 0x4
	ds_store_b128 v1, v[65:68]
	s_wait_loadcnt 0x3
	ds_store_b128 v2, v[69:72]
	s_wait_loadcnt 0x2
	ds_store_b128 v3, v[73:76]
	s_wait_loadcnt 0x1
	ds_store_b128 v4, v[77:80]
	s_wait_loadcnt 0x0
	ds_store_b128 v5, v[81:84]
.LBB0_16:
	v_mul_u32_u24_e32 v1, 0x223, v11
	global_wb scope:SCOPE_SE
	s_wait_dscnt 0x0
	s_barrier_signal -1
	s_barrier_wait -1
	global_inv scope:SCOPE_SE
	v_lshrrev_b32_e32 v1, 16, v1
	s_delay_alu instid0(VALU_DEP_1) | instskip(NEXT) | instid1(VALU_DEP_1)
	v_mul_lo_u16 v1, 0x78, v1
	v_sub_nc_u16 v1, v0, v1
	s_delay_alu instid0(VALU_DEP_1) | instskip(NEXT) | instid1(VALU_DEP_1)
	v_and_b32_e32 v76, 0xffff, v1
	v_add_nc_u32_e32 v1, s24, v76
	s_delay_alu instid0(VALU_DEP_1)
	v_cmp_gt_u32_e32 vcc_lo, s33, v1
	s_or_b32 s0, s10, vcc_lo
	s_wait_alu 0xfffe
	s_and_saveexec_b32 s1, s0
	s_cbranch_execz .LBB0_18
; %bb.17:
	v_mul_hi_u32 v77, 0x2222223, v0
	v_lshlrev_b32_e32 v0, 4, v76
	s_mov_b32 s16, 0x5d8e7cdc
	s_mov_b32 s10, 0xacd6c6b4
	;; [unrolled: 1-line block ×6, first 2 shown]
	v_mul_u32_u24_e32 v1, 0x780, v77
	s_mov_b32 s44, 0x923c349f
	s_mov_b32 s48, 0xeb564b22
	;; [unrolled: 1-line block ×4, first 2 shown]
	v_add3_u32 v56, 0, v1, v0
	s_mov_b32 s25, 0xbfe0d888
	s_mov_b32 s31, 0x3fe58eea
	;; [unrolled: 1-line block ×4, first 2 shown]
	ds_load_b128 v[0:3], v56
	ds_load_b128 v[8:11], v56 offset:1920
	ds_load_b128 v[16:19], v56 offset:3840
	;; [unrolled: 1-line block ×11, first 2 shown]
	s_mov_b32 s45, 0xbfeec746
	s_mov_b32 s49, 0x3fefdd0d
	;; [unrolled: 1-line block ×7, first 2 shown]
	s_wait_alu 0xfffe
	s_mov_b32 s46, s16
	s_mov_b32 s52, s30
	s_mov_b32 s50, s38
	s_mov_b32 s6, 0x370991
	s_mov_b32 s0, 0x7faef3
	s_wait_dscnt 0xa
	v_add_f64_e32 v[4:5], v[2:3], v[10:11]
	v_add_f64_e32 v[6:7], v[0:1], v[8:9]
	s_mov_b32 s8, 0x910ea3b9
	s_mov_b32 s26, 0x6ed5f1bb
	;; [unrolled: 1-line block ×4, first 2 shown]
	s_wait_dscnt 0x1
	v_add_f64_e64 v[58:59], v[36:37], -v[70:71]
	s_mov_b32 s9, 0xbfeb34fa
	s_mov_b32 s27, 0xbfe348c8
	s_mov_b32 s55, 0x3feec746
	s_mov_b32 s57, 0x3fe0d888
	s_mov_b32 s54, s44
	s_mov_b32 s56, s24
	s_wait_dscnt 0x0
	v_add_f64_e64 v[62:63], v[32:33], -v[78:79]
	v_add_f64_e32 v[60:61], v[34:35], v[80:81]
	s_mov_b32 s18, 0x75d4884
	s_mov_b32 s28, 0x2b2883cd
	;; [unrolled: 1-line block ×12, first 2 shown]
	ds_load_b128 v[82:85], v56 offset:23040
	v_add_f64_e32 v[4:5], v[4:5], v[18:19]
	v_add_f64_e32 v[6:7], v[6:7], v[16:17]
	s_wait_dscnt 0x0
	v_add_f64_e64 v[66:67], v[28:29], -v[82:83]
	v_add_f64_e32 v[64:65], v[30:31], v[84:85]
	s_delay_alu instid0(VALU_DEP_4) | instskip(NEXT) | instid1(VALU_DEP_4)
	v_add_f64_e32 v[4:5], v[4:5], v[26:27]
	v_add_f64_e32 v[6:7], v[6:7], v[24:25]
	s_delay_alu instid0(VALU_DEP_2) | instskip(NEXT) | instid1(VALU_DEP_2)
	v_add_f64_e32 v[4:5], v[4:5], v[22:23]
	v_add_f64_e32 v[6:7], v[6:7], v[20:21]
	s_delay_alu instid0(VALU_DEP_2) | instskip(NEXT) | instid1(VALU_DEP_2)
	v_add_f64_e32 v[4:5], v[4:5], v[30:31]
	v_add_f64_e32 v[6:7], v[6:7], v[28:29]
	;; [unrolled: 1-line block ×3, first 2 shown]
	v_add_f64_e64 v[30:31], v[30:31], -v[84:85]
	s_delay_alu instid0(VALU_DEP_4) | instskip(NEXT) | instid1(VALU_DEP_4)
	v_add_f64_e32 v[4:5], v[4:5], v[34:35]
	v_add_f64_e32 v[6:7], v[6:7], v[32:33]
	;; [unrolled: 1-line block ×3, first 2 shown]
	v_add_f64_e64 v[34:35], v[34:35], -v[80:81]
	s_delay_alu instid0(VALU_DEP_4) | instskip(NEXT) | instid1(VALU_DEP_4)
	v_add_f64_e32 v[4:5], v[4:5], v[38:39]
	v_add_f64_e32 v[6:7], v[6:7], v[36:37]
	s_delay_alu instid0(VALU_DEP_2) | instskip(NEXT) | instid1(VALU_DEP_2)
	v_add_f64_e32 v[52:53], v[4:5], v[42:43]
	v_add_f64_e32 v[54:55], v[6:7], v[40:41]
	ds_load_b128 v[4:7], v56 offset:30720
	ds_load_b128 v[44:47], v56 offset:26880
	;; [unrolled: 1-line block ×4, first 2 shown]
	v_add_f64_e32 v[56:57], v[38:39], v[72:73]
	s_wait_dscnt 0x3
	v_add_f64_e64 v[74:75], v[8:9], -v[4:5]
	v_add_f64_e64 v[90:91], v[10:11], -v[6:7]
	v_add_f64_e32 v[96:97], v[10:11], v[6:7]
	v_add_f64_e32 v[10:11], v[36:37], v[70:71]
	v_add_f64_e64 v[36:37], v[38:39], -v[72:73]
	v_add_f64_e32 v[98:99], v[8:9], v[4:5]
	s_wait_dscnt 0x1
	v_add_f64_e64 v[100:101], v[16:17], -v[12:13]
	v_add_f64_e64 v[102:103], v[18:19], -v[14:15]
	s_wait_dscnt 0x0
	v_add_f64_e64 v[68:69], v[20:21], -v[86:87]
	v_add_f64_e32 v[8:9], v[40:41], v[48:49]
	v_add_f64_e32 v[38:39], v[26:27], v[46:47]
	;; [unrolled: 1-line block ×6, first 2 shown]
	v_add_f64_e64 v[54:55], v[40:41], -v[48:49]
	v_add_f64_e32 v[52:53], v[42:43], v[50:51]
	v_add_f64_e64 v[40:41], v[42:43], -v[50:51]
	v_add_f64_e64 v[42:43], v[26:27], -v[46:47]
	v_add_f64_e32 v[50:51], v[18:19], v[14:15]
	v_add_f64_e64 v[26:27], v[22:23], -v[88:89]
	v_add_f64_e32 v[18:19], v[22:23], v[88:89]
	;; [unrolled: 2-line block ×3, first 2 shown]
	v_mul_f64_e32 v[104:105], s[10:11], v[74:75]
	v_mul_f64_e32 v[106:107], s[10:11], v[90:91]
	;; [unrolled: 1-line block ×16, first 2 shown]
	v_add_f64_e32 v[72:73], v[92:93], v[72:73]
	v_add_f64_e32 v[70:71], v[94:95], v[70:71]
	v_mul_f64_e32 v[94:95], s[44:45], v[90:91]
	v_mul_f64_e32 v[90:91], s[46:47], v[90:91]
	;; [unrolled: 1-line block ×16, first 2 shown]
	s_wait_alu 0xfffe
	v_fma_f64 v[154:155], v[96:97], s[0:1], v[104:105]
	v_fma_f64 v[156:157], v[98:99], s[0:1], -v[106:107]
	v_fma_f64 v[104:105], v[96:97], s[0:1], -v[104:105]
	v_fma_f64 v[106:107], v[98:99], s[0:1], v[106:107]
	v_fma_f64 v[158:159], v[96:97], s[8:9], v[110:111]
	v_fma_f64 v[160:161], v[98:99], s[8:9], -v[112:113]
	v_fma_f64 v[168:169], v[98:99], s[34:35], -v[116:117]
	v_fma_f64 v[116:117], v[98:99], s[34:35], v[116:117]
	v_fma_f64 v[172:173], v[98:99], s[28:29], -v[120:121]
	v_fma_f64 v[166:167], v[96:97], s[34:35], v[114:115]
	;; [unrolled: 2-line block ×4, first 2 shown]
	v_fma_f64 v[174:175], v[96:97], s[18:19], v[122:123]
	v_fma_f64 v[176:177], v[98:99], s[18:19], -v[124:125]
	v_add_f64_e32 v[72:73], v[72:73], v[80:81]
	v_add_f64_e32 v[70:71], v[70:71], v[78:79]
	v_fma_f64 v[78:79], v[96:97], s[8:9], -v[110:111]
	v_fma_f64 v[80:81], v[98:99], s[8:9], v[112:113]
	v_fma_f64 v[110:111], v[96:97], s[26:27], v[20:21]
	v_fma_f64 v[112:113], v[98:99], s[26:27], -v[22:23]
	v_fma_f64 v[20:21], v[96:97], s[26:27], -v[20:21]
	v_fma_f64 v[22:23], v[98:99], s[26:27], v[22:23]
	v_fma_f64 v[180:181], v[98:99], s[6:7], -v[90:91]
	v_fma_f64 v[162:163], v[96:97], s[40:41], v[92:93]
	v_fma_f64 v[164:165], v[98:99], s[40:41], -v[94:95]
	v_fma_f64 v[92:93], v[96:97], s[40:41], -v[92:93]
	v_fma_f64 v[94:95], v[98:99], s[40:41], v[94:95]
	v_fma_f64 v[122:123], v[96:97], s[18:19], -v[122:123]
	v_fma_f64 v[124:125], v[98:99], s[18:19], v[124:125]
	v_fma_f64 v[178:179], v[96:97], s[6:7], v[74:75]
	v_fma_f64 v[74:75], v[96:97], s[6:7], -v[74:75]
	v_fma_f64 v[90:91], v[98:99], s[6:7], v[90:91]
	v_fma_f64 v[96:97], v[50:51], s[6:7], v[126:127]
	v_fma_f64 v[98:99], v[108:109], s[6:7], -v[128:129]
	v_fma_f64 v[126:127], v[50:51], s[6:7], -v[126:127]
	v_fma_f64 v[128:129], v[108:109], s[6:7], v[128:129]
	v_fma_f64 v[182:183], v[50:51], s[28:29], v[130:131]
	v_fma_f64 v[130:131], v[50:51], s[28:29], -v[130:131]
	v_add_f64_e32 v[154:155], v[2:3], v[154:155]
	v_add_f64_e32 v[156:157], v[0:1], v[156:157]
	;; [unrolled: 1-line block ×4, first 2 shown]
	v_fma_f64 v[184:185], v[50:51], s[40:41], v[132:133]
	v_fma_f64 v[132:133], v[50:51], s[40:41], -v[132:133]
	v_fma_f64 v[186:187], v[50:51], s[8:9], v[134:135]
	v_fma_f64 v[134:135], v[50:51], s[8:9], -v[134:135]
	;; [unrolled: 2-line block ×3, first 2 shown]
	v_add_f64_e32 v[158:159], v[2:3], v[158:159]
	v_add_f64_e32 v[160:161], v[0:1], v[160:161]
	;; [unrolled: 1-line block ×8, first 2 shown]
	v_fma_f64 v[84:85], v[50:51], s[0:1], v[136:137]
	v_add_f64_e32 v[112:113], v[0:1], v[112:113]
	v_add_f64_e32 v[190:191], v[2:3], v[20:21]
	;; [unrolled: 1-line block ×4, first 2 shown]
	v_fma_f64 v[180:181], v[50:51], s[18:19], v[100:101]
	v_fma_f64 v[22:23], v[50:51], s[18:19], -v[100:101]
	v_fma_f64 v[100:101], v[108:109], s[28:29], -v[142:143]
	v_fma_f64 v[142:143], v[108:109], s[28:29], v[142:143]
	v_fma_f64 v[136:137], v[50:51], s[0:1], -v[136:137]
	v_add_f64_e32 v[110:111], v[2:3], v[110:111]
	v_add_f64_e32 v[162:163], v[2:3], v[162:163]
	;; [unrolled: 1-line block ×18, first 2 shown]
	v_fma_f64 v[90:91], v[50:51], s[34:35], v[140:141]
	v_fma_f64 v[140:141], v[50:51], s[34:35], -v[140:141]
	v_fma_f64 v[194:195], v[108:109], s[26:27], -v[150:151]
	v_fma_f64 v[150:151], v[108:109], s[26:27], v[150:151]
	v_fma_f64 v[50:51], v[108:109], s[18:19], -v[102:103]
	v_fma_f64 v[74:75], v[108:109], s[18:19], v[102:103]
	v_add_f64_e32 v[70:71], v[72:73], v[88:89]
	v_add_f64_e32 v[72:73], v[82:83], v[86:87]
	v_fma_f64 v[82:83], v[108:109], s[40:41], -v[144:145]
	v_fma_f64 v[86:87], v[108:109], s[40:41], v[144:145]
	v_fma_f64 v[88:89], v[108:109], s[8:9], -v[146:147]
	v_fma_f64 v[144:145], v[108:109], s[8:9], v[146:147]
	;; [unrolled: 2-line block ×3, first 2 shown]
	v_add_f64_e32 v[96:97], v[96:97], v[154:155]
	v_add_f64_e32 v[98:99], v[98:99], v[156:157]
	;; [unrolled: 1-line block ×4, first 2 shown]
	v_mul_f64_e32 v[106:107], s[24:25], v[48:49]
	v_mul_f64_e32 v[126:127], s[24:25], v[42:43]
	v_mul_f64_e32 v[128:129], s[42:43], v[48:49]
	v_add_f64_e32 v[78:79], v[130:131], v[78:79]
	v_mul_f64_e32 v[130:131], s[42:43], v[42:43]
	v_add_f64_e32 v[80:81], v[142:143], v[80:81]
	v_mul_f64_e32 v[142:143], s[46:47], v[48:49]
	v_mul_f64_e32 v[154:155], s[46:47], v[42:43]
	;; [unrolled: 1-line block ×3, first 2 shown]
	v_fma_f64 v[196:197], v[108:109], s[34:35], -v[152:153]
	v_fma_f64 v[152:153], v[108:109], s[34:35], v[152:153]
	v_add_f64_e32 v[108:109], v[182:183], v[158:159]
	v_add_f64_e32 v[100:101], v[100:101], v[160:161]
	;; [unrolled: 1-line block ×4, first 2 shown]
	v_mul_f64_e32 v[158:159], s[54:55], v[48:49]
	v_add_f64_e32 v[160:161], v[186:187], v[162:163]
	v_mul_f64_e32 v[162:163], s[54:55], v[42:43]
	v_add_f64_e32 v[92:93], v[134:135], v[92:93]
	v_add_f64_e32 v[84:85], v[84:85], v[166:167]
	v_mul_f64_e32 v[166:167], s[60:61], v[48:49]
	v_add_f64_e32 v[114:115], v[136:137], v[114:115]
	;; [unrolled: 3-line block ×3, first 2 shown]
	v_mul_f64_e32 v[150:151], s[58:59], v[26:27]
	v_add_f64_e32 v[90:91], v[90:91], v[174:175]
	v_mul_f64_e32 v[174:175], s[24:25], v[68:69]
	v_add_f64_e32 v[82:83], v[82:83], v[112:113]
	;; [unrolled: 2-line block ×3, first 2 shown]
	v_add_f64_e32 v[88:89], v[88:89], v[164:165]
	v_add_f64_e32 v[94:95], v[144:145], v[94:95]
	v_mul_f64_e32 v[144:145], s[30:31], v[68:69]
	v_add_f64_e32 v[146:147], v[146:147], v[168:169]
	v_add_f64_e32 v[116:117], v[148:149], v[116:117]
	v_mul_f64_e32 v[148:149], s[30:31], v[26:27]
	v_add_f64_e32 v[122:123], v[140:141], v[122:123]
	v_fma_f64 v[164:165], v[38:39], s[8:9], v[106:107]
	v_fma_f64 v[134:135], v[24:25], s[8:9], -v[126:127]
	v_fma_f64 v[106:107], v[38:39], s[8:9], -v[106:107]
	v_fma_f64 v[126:127], v[24:25], s[8:9], v[126:127]
	v_fma_f64 v[168:169], v[38:39], s[34:35], v[128:129]
	v_fma_f64 v[136:137], v[24:25], s[34:35], -v[130:131]
	v_fma_f64 v[128:129], v[38:39], s[34:35], -v[128:129]
	v_fma_f64 v[130:131], v[24:25], s[34:35], v[130:131]
	;; [unrolled: 4-line block ×3, first 2 shown]
	v_fma_f64 v[140:141], v[24:25], s[18:19], -v[156:157]
	v_add_f64_e32 v[170:171], v[188:189], v[170:171]
	v_add_f64_e32 v[124:125], v[152:153], v[124:125]
	v_mul_f64_e32 v[152:153], s[24:25], v[26:27]
	v_fma_f64 v[156:157], v[24:25], s[18:19], v[156:157]
	v_add_f64_e32 v[178:179], v[180:181], v[178:179]
	v_mul_f64_e32 v[180:181], s[10:11], v[36:37]
	v_add_f64_e32 v[172:173], v[194:195], v[172:173]
	v_add_f64_e32 v[176:177], v[196:197], v[176:177]
	v_mul_f64_e32 v[188:189], s[46:47], v[36:37]
	v_add_f64_e32 v[0:1], v[74:75], v[0:1]
	v_add_f64_e32 v[2:3], v[22:23], v[2:3]
	;; [unrolled: 1-line block ×4, first 2 shown]
	v_mul_f64_e32 v[50:51], s[24:25], v[34:35]
	v_add_f64_e32 v[46:47], v[70:71], v[46:47]
	v_fma_f64 v[186:187], v[38:39], s[18:19], v[112:113]
	v_fma_f64 v[112:113], v[38:39], s[18:19], -v[112:113]
	v_add_f64_e32 v[96:97], v[164:165], v[96:97]
	v_fma_f64 v[164:165], v[38:39], s[40:41], v[158:159]
	v_add_f64_e32 v[98:99], v[134:135], v[98:99]
	v_fma_f64 v[134:135], v[24:25], s[40:41], -v[162:163]
	v_add_f64_e32 v[102:103], v[106:107], v[102:103]
	v_mul_f64_e32 v[106:107], s[50:51], v[68:69]
	v_fma_f64 v[158:159], v[38:39], s[40:41], -v[158:159]
	v_add_f64_e32 v[104:105], v[126:127], v[104:105]
	v_mul_f64_e32 v[126:127], s[50:51], v[26:27]
	v_fma_f64 v[162:163], v[24:25], s[40:41], v[162:163]
	v_add_f64_e32 v[108:109], v[168:169], v[108:109]
	v_fma_f64 v[168:169], v[38:39], s[0:1], v[166:167]
	v_add_f64_e32 v[100:101], v[136:137], v[100:101]
	;; [unrolled: 2-line block ×3, first 2 shown]
	v_fma_f64 v[128:129], v[16:17], s[18:19], -v[148:149]
	v_add_f64_e32 v[80:81], v[130:131], v[80:81]
	v_mul_f64_e32 v[130:131], s[16:17], v[68:69]
	v_fma_f64 v[144:145], v[18:19], s[18:19], -v[144:145]
	v_add_f64_e32 v[110:111], v[182:183], v[110:111]
	v_mul_f64_e32 v[182:183], s[16:17], v[26:27]
	v_fma_f64 v[148:149], v[16:17], s[18:19], v[148:149]
	v_add_f64_e32 v[82:83], v[184:185], v[82:83]
	v_fma_f64 v[184:185], v[18:19], s[26:27], v[138:139]
	v_add_f64_e32 v[132:133], v[142:143], v[132:133]
	v_fma_f64 v[142:143], v[16:17], s[26:27], -v[150:151]
	v_add_f64_e32 v[86:87], v[154:155], v[86:87]
	v_mul_f64_e32 v[154:155], s[36:37], v[66:67]
	v_fma_f64 v[138:139], v[18:19], s[26:27], -v[138:139]
	v_fma_f64 v[150:151], v[16:17], s[26:27], v[150:151]
	v_add_f64_e32 v[160:161], v[186:187], v[160:161]
	v_mul_f64_e32 v[186:187], s[36:37], v[30:31]
	v_add_f64_e32 v[88:89], v[140:141], v[88:89]
	v_fma_f64 v[140:141], v[18:19], s[8:9], v[174:175]
	v_add_f64_e32 v[92:93], v[112:113], v[92:93]
	v_mul_f64_e32 v[112:113], s[38:39], v[62:63]
	v_add_f64_e32 v[94:95], v[156:157], v[94:95]
	v_mul_f64_e32 v[156:157], s[46:47], v[66:67]
	v_fma_f64 v[174:175], v[18:19], s[8:9], -v[174:175]
	v_add_f64_e32 v[84:85], v[164:165], v[84:85]
	v_mul_f64_e32 v[164:165], s[54:55], v[68:69]
	v_add_f64_e32 v[134:135], v[134:135], v[146:147]
	v_fma_f64 v[146:147], v[16:17], s[8:9], -v[152:153]
	v_fma_f64 v[152:153], v[16:17], s[8:9], v[152:153]
	v_add_f64_e32 v[114:115], v[158:159], v[114:115]
	v_mul_f64_e32 v[158:159], s[46:47], v[30:31]
	v_fma_f64 v[166:167], v[38:39], s[0:1], -v[166:167]
	v_add_f64_e32 v[116:117], v[162:163], v[116:117]
	v_fma_f64 v[162:163], v[18:19], s[28:29], v[106:107]
	v_add_f64_e32 v[168:169], v[168:169], v[170:171]
	v_fma_f64 v[170:171], v[16:17], s[28:29], -v[126:127]
	v_add_f64_e32 v[96:97], v[136:137], v[96:97]
	v_mul_f64_e32 v[136:137], s[48:49], v[66:67]
	v_fma_f64 v[106:107], v[18:19], s[28:29], -v[106:107]
	v_add_f64_e32 v[98:99], v[128:129], v[98:99]
	v_mul_f64_e32 v[128:129], s[48:49], v[30:31]
	v_fma_f64 v[126:127], v[16:17], s[28:29], v[126:127]
	v_add_f64_e32 v[102:103], v[144:145], v[102:103]
	v_fma_f64 v[144:145], v[18:19], s[6:7], v[130:131]
	v_add_f64_e32 v[104:105], v[148:149], v[104:105]
	v_fma_f64 v[148:149], v[16:17], s[6:7], -v[182:183]
	v_fma_f64 v[182:183], v[16:17], s[6:7], v[182:183]
	v_add_f64_e32 v[108:109], v[184:185], v[108:109]
	v_add_f64_e32 v[100:101], v[142:143], v[100:101]
	v_mul_f64_e32 v[142:143], s[10:11], v[30:31]
	v_mul_f64_e32 v[184:185], s[10:11], v[66:67]
	v_add_f64_e32 v[78:79], v[138:139], v[78:79]
	v_fma_f64 v[138:139], v[64:65], s[26:27], v[154:155]
	v_add_f64_e32 v[80:81], v[150:151], v[80:81]
	v_fma_f64 v[150:151], v[28:29], s[26:27], -v[186:187]
	v_fma_f64 v[154:155], v[64:65], s[26:27], -v[154:155]
	v_add_f64_e32 v[110:111], v[140:141], v[110:111]
	v_mul_f64_e32 v[140:141], s[38:39], v[34:35]
	v_fma_f64 v[186:187], v[28:29], s[26:27], v[186:187]
	v_fma_f64 v[130:131], v[18:19], s[6:7], -v[130:131]
	v_fma_f64 v[22:23], v[10:11], s[6:7], -v[188:189]
	v_add_f64_e32 v[132:133], v[174:175], v[132:133]
	v_fma_f64 v[70:71], v[10:11], s[0:1], -v[180:181]
	v_fma_f64 v[174:175], v[18:19], s[40:41], v[164:165]
	v_add_f64_e32 v[82:83], v[146:147], v[82:83]
	v_mul_f64_e32 v[146:147], s[50:51], v[66:67]
	v_add_f64_e32 v[86:87], v[152:153], v[86:87]
	v_fma_f64 v[152:153], v[64:65], s[6:7], v[156:157]
	v_fma_f64 v[156:157], v[64:65], s[6:7], -v[156:157]
	v_add_f64_e32 v[118:119], v[166:167], v[118:119]
	v_add_f64_e32 v[160:161], v[162:163], v[160:161]
	v_fma_f64 v[162:163], v[28:29], s[6:7], -v[158:159]
	v_add_f64_e32 v[88:89], v[170:171], v[88:89]
	v_mul_f64_e32 v[170:171], s[50:51], v[30:31]
	v_fma_f64 v[158:159], v[28:29], s[6:7], v[158:159]
	v_add_f64_e32 v[92:93], v[106:107], v[92:93]
	v_mul_f64_e32 v[106:107], s[10:11], v[62:63]
	v_add_f64_e32 v[94:95], v[126:127], v[94:95]
	v_fma_f64 v[126:127], v[64:65], s[34:35], v[136:137]
	v_add_f64_e32 v[84:85], v[144:145], v[84:85]
	v_fma_f64 v[144:145], v[28:29], s[34:35], -v[128:129]
	v_add_f64_e32 v[134:135], v[148:149], v[134:135]
	v_mul_f64_e32 v[148:149], s[10:11], v[34:35]
	v_fma_f64 v[136:137], v[64:65], s[34:35], -v[136:137]
	v_add_f64_e32 v[116:117], v[182:183], v[116:117]
	v_mul_f64_e32 v[182:183], s[44:45], v[58:59]
	v_fma_f64 v[128:129], v[28:29], s[34:35], v[128:129]
	v_add_f64_e32 v[96:97], v[138:139], v[96:97]
	v_fma_f64 v[138:139], v[28:29], s[0:1], -v[142:143]
	v_add_f64_e32 v[98:99], v[150:151], v[98:99]
	v_fma_f64 v[150:151], v[60:61], s[28:29], v[112:113]
	v_add_f64_e32 v[102:103], v[154:155], v[102:103]
	v_fma_f64 v[154:155], v[32:33], s[28:29], -v[140:141]
	v_add_f64_e32 v[104:105], v[186:187], v[104:105]
	v_mul_f64_e32 v[186:187], s[44:45], v[36:37]
	v_fma_f64 v[140:141], v[32:33], s[28:29], v[140:141]
	v_add_f64_e32 v[114:115], v[130:131], v[114:115]
	v_fma_f64 v[130:131], v[64:65], s[0:1], v[184:185]
	v_fma_f64 v[112:113], v[60:61], s[28:29], -v[112:113]
	v_add_f64_e32 v[168:169], v[174:175], v[168:169]
	v_mul_f64_e32 v[174:175], s[52:53], v[62:63]
	v_fma_f64 v[184:185], v[64:65], s[0:1], -v[184:185]
	v_fma_f64 v[142:143], v[28:29], s[0:1], v[142:143]
	v_add_f64_e32 v[108:109], v[152:153], v[108:109]
	v_mul_f64_e32 v[152:153], s[52:53], v[34:35]
	v_add_f64_e32 v[78:79], v[156:157], v[78:79]
	v_fma_f64 v[156:157], v[64:65], s[28:29], v[146:147]
	v_add_f64_e32 v[100:101], v[162:163], v[100:101]
	v_mul_f64_e32 v[162:163], s[48:49], v[62:63]
	v_fma_f64 v[146:147], v[64:65], s[28:29], -v[146:147]
	v_add_f64_e32 v[80:81], v[158:159], v[80:81]
	v_fma_f64 v[158:159], v[28:29], s[28:29], -v[170:171]
	v_add_f64_e32 v[110:111], v[126:127], v[110:111]
	v_mul_f64_e32 v[126:127], s[48:49], v[34:35]
	v_add_f64_e32 v[82:83], v[144:145], v[82:83]
	v_fma_f64 v[144:145], v[60:61], s[0:1], v[106:107]
	v_fma_f64 v[106:107], v[60:61], s[0:1], -v[106:107]
	v_add_f64_e32 v[132:133], v[136:137], v[132:133]
	v_fma_f64 v[136:137], v[32:33], s[0:1], -v[148:149]
	v_fma_f64 v[148:149], v[32:33], s[0:1], v[148:149]
	v_add_f64_e32 v[86:87], v[128:129], v[86:87]
	v_mul_f64_e32 v[128:129], s[48:49], v[54:55]
	v_add_f64_e32 v[88:89], v[138:139], v[88:89]
	v_mul_f64_e32 v[138:139], s[30:31], v[58:59]
	v_add_f64_e32 v[96:97], v[150:151], v[96:97]
	v_fma_f64 v[150:151], v[56:57], s[40:41], v[182:183]
	v_add_f64_e32 v[98:99], v[154:155], v[98:99]
	v_fma_f64 v[182:183], v[56:57], s[40:41], -v[182:183]
	v_fma_f64 v[154:155], v[10:11], s[40:41], -v[186:187]
	v_fma_f64 v[186:187], v[10:11], s[40:41], v[186:187]
	v_add_f64_e32 v[104:105], v[140:141], v[104:105]
	v_mul_f64_e32 v[140:141], s[48:49], v[40:41]
	v_add_f64_e32 v[130:131], v[130:131], v[160:161]
	v_mul_f64_e32 v[160:161], s[24:25], v[62:63]
	;; [unrolled: 2-line block ×3, first 2 shown]
	v_add_f64_e32 v[92:93], v[184:185], v[92:93]
	v_fma_f64 v[184:185], v[60:61], s[18:19], v[174:175]
	v_add_f64_e32 v[94:95], v[142:143], v[94:95]
	v_mul_f64_e32 v[142:143], s[10:11], v[58:59]
	v_add_f64_e32 v[84:85], v[156:157], v[84:85]
	v_fma_f64 v[156:157], v[32:33], s[18:19], -v[152:153]
	v_fma_f64 v[174:175], v[60:61], s[18:19], -v[174:175]
	v_fma_f64 v[152:153], v[32:33], s[18:19], v[152:153]
	v_add_f64_e32 v[114:115], v[146:147], v[114:115]
	v_add_f64_e32 v[134:135], v[158:159], v[134:135]
	v_mul_f64_e32 v[158:159], s[60:61], v[42:43]
	v_fma_f64 v[146:147], v[60:61], s[34:35], v[162:163]
	v_fma_f64 v[162:163], v[60:61], s[34:35], -v[162:163]
	v_add_f64_e32 v[108:109], v[144:145], v[108:109]
	v_fma_f64 v[144:145], v[32:33], s[34:35], -v[126:127]
	v_add_f64_e32 v[78:79], v[106:107], v[78:79]
	v_add_f64_e32 v[100:101], v[136:137], v[100:101]
	v_mul_f64_e32 v[136:137], s[36:37], v[48:49]
	v_mul_f64_e32 v[48:49], s[50:51], v[48:49]
	;; [unrolled: 1-line block ×3, first 2 shown]
	v_fma_f64 v[126:127], v[32:33], s[34:35], v[126:127]
	v_mul_f64_e32 v[42:43], s[50:51], v[42:43]
	v_add_f64_e32 v[148:149], v[148:149], v[80:81]
	v_add_f64_e32 v[96:97], v[150:151], v[96:97]
	v_fma_f64 v[150:151], v[56:57], s[18:19], v[138:139]
	v_fma_f64 v[138:139], v[56:57], s[18:19], -v[138:139]
	v_add_f64_e32 v[98:99], v[154:155], v[98:99]
	v_fma_f64 v[154:155], v[52:53], s[34:35], v[128:129]
	v_add_f64_e32 v[104:105], v[186:187], v[104:105]
	v_fma_f64 v[186:187], v[8:9], s[34:35], -v[140:141]
	v_fma_f64 v[140:141], v[8:9], s[34:35], v[140:141]
	v_fma_f64 v[80:81], v[60:61], s[8:9], v[160:161]
	v_add_f64_e32 v[102:103], v[182:183], v[102:103]
	v_fma_f64 v[182:183], v[10:11], s[18:19], -v[112:113]
	v_fma_f64 v[128:129], v[52:53], s[34:35], -v[128:129]
	v_fma_f64 v[112:113], v[10:11], s[18:19], v[112:113]
	v_add_f64_e32 v[110:111], v[184:185], v[110:111]
	v_mul_f64_e32 v[184:185], s[46:47], v[58:59]
	v_add_f64_e32 v[156:157], v[156:157], v[82:83]
	v_add_f64_e32 v[132:133], v[174:175], v[132:133]
	v_mul_f64_e32 v[174:175], s[54:55], v[26:27]
	v_add_f64_e32 v[86:87], v[152:153], v[86:87]
	v_mul_f64_e32 v[152:153], s[10:11], v[68:69]
	v_mul_f64_e32 v[68:69], s[42:43], v[68:69]
	v_add_f64_e32 v[130:131], v[146:147], v[130:131]
	v_fma_f64 v[146:147], v[24:25], s[0:1], -v[158:159]
	v_add_f64_e32 v[92:93], v[162:163], v[92:93]
	v_fma_f64 v[162:163], v[56:57], s[0:1], v[142:143]
	v_fma_f64 v[158:159], v[24:25], s[0:1], v[158:159]
	v_add_f64_e32 v[88:89], v[144:145], v[88:89]
	v_mul_f64_e32 v[144:145], s[10:11], v[26:27]
	v_mul_f64_e32 v[26:27], s[42:43], v[26:27]
	v_fma_f64 v[192:193], v[24:25], s[26:27], -v[106:107]
	v_add_f64_e32 v[94:95], v[126:127], v[94:95]
	v_fma_f64 v[126:127], v[38:39], s[26:27], v[136:137]
	v_fma_f64 v[136:137], v[38:39], s[26:27], -v[136:137]
	v_fma_f64 v[106:107], v[24:25], s[26:27], v[106:107]
	v_add_f64_e32 v[108:109], v[150:151], v[108:109]
	v_fma_f64 v[150:151], v[38:39], s[28:29], v[48:49]
	v_add_f64_e32 v[138:139], v[138:139], v[78:79]
	v_fma_f64 v[38:39], v[38:39], s[28:29], -v[48:49]
	v_mul_f64_e32 v[48:49], s[30:31], v[66:67]
	v_add_f64_e32 v[78:79], v[186:187], v[98:99]
	v_add_f64_e32 v[82:83], v[140:141], v[104:105]
	v_fma_f64 v[98:99], v[10:11], s[0:1], v[180:181]
	v_fma_f64 v[104:105], v[24:25], s[28:29], v[42:43]
	v_fma_f64 v[24:25], v[24:25], s[28:29], -v[42:43]
	v_add_f64_e32 v[190:191], v[80:81], v[84:85]
	v_add_f64_e32 v[80:81], v[154:155], v[96:97]
	;; [unrolled: 1-line block ×4, first 2 shown]
	v_fma_f64 v[96:97], v[56:57], s[0:1], -v[142:143]
	v_fma_f64 v[102:103], v[56:57], s[6:7], v[184:185]
	v_fma_f64 v[74:75], v[56:57], s[6:7], -v[184:185]
	v_fma_f64 v[112:113], v[28:29], s[28:29], v[170:171]
	v_fma_f64 v[128:129], v[16:17], s[40:41], -v[174:175]
	v_mul_f64_e32 v[140:141], s[30:31], v[30:31]
	v_fma_f64 v[142:143], v[18:19], s[40:41], -v[164:165]
	v_mul_f64_e32 v[154:155], s[56:57], v[66:67]
	v_add_f64_e32 v[42:43], v[146:147], v[172:173]
	v_fma_f64 v[146:147], v[16:17], s[40:41], v[174:175]
	v_add_f64_e32 v[110:111], v[162:163], v[110:111]
	v_add_f64_e32 v[120:121], v[158:159], v[120:121]
	v_mul_f64_e32 v[158:159], s[56:57], v[30:31]
	v_fma_f64 v[162:163], v[18:19], s[34:35], v[68:69]
	v_mul_f64_e32 v[66:67], s[44:45], v[66:67]
	v_mul_f64_e32 v[30:31], s[44:45], v[30:31]
	v_add_f64_e32 v[22:23], v[22:23], v[88:89]
	v_fma_f64 v[88:89], v[32:33], s[8:9], -v[50:51]
	v_add_f64_e32 v[148:149], v[192:193], v[176:177]
	v_fma_f64 v[50:51], v[32:33], s[8:9], v[50:51]
	v_add_f64_e32 v[90:91], v[126:127], v[90:91]
	v_fma_f64 v[126:127], v[18:19], s[0:1], v[152:153]
	v_add_f64_e32 v[122:123], v[136:137], v[122:123]
	v_fma_f64 v[136:137], v[16:17], s[0:1], -v[144:145]
	v_fma_f64 v[152:153], v[18:19], s[0:1], -v[152:153]
	v_add_f64_e32 v[106:107], v[106:107], v[124:125]
	v_fma_f64 v[124:125], v[16:17], s[0:1], v[144:145]
	v_add_f64_e32 v[150:151], v[150:151], v[178:179]
	v_fma_f64 v[18:19], v[18:19], s[34:35], -v[68:69]
	v_add_f64_e32 v[2:3], v[38:39], v[2:3]
	v_fma_f64 v[68:69], v[64:65], s[18:19], v[48:49]
	v_add_f64_e32 v[86:87], v[98:99], v[86:87]
	v_add_f64_e32 v[0:1], v[104:105], v[0:1]
	v_fma_f64 v[98:99], v[16:17], s[34:35], v[26:27]
	v_add_f64_e32 v[20:21], v[24:25], v[20:21]
	v_fma_f64 v[16:17], v[16:17], s[34:35], -v[26:27]
	v_mul_f64_e32 v[24:25], s[46:47], v[62:63]
	v_mul_f64_e32 v[104:105], s[46:47], v[34:35]
	v_fma_f64 v[48:49], v[64:65], s[18:19], -v[48:49]
	v_add_f64_e32 v[38:39], v[102:103], v[130:131]
	v_add_f64_e32 v[74:75], v[74:75], v[92:93]
	;; [unrolled: 1-line block ×3, first 2 shown]
	v_mul_f64_e32 v[130:131], s[54:55], v[34:35]
	v_fma_f64 v[92:93], v[28:29], s[18:19], -v[140:141]
	v_add_f64_e32 v[102:103], v[142:143], v[118:119]
	v_fma_f64 v[116:117], v[28:29], s[18:19], v[140:141]
	v_add_f64_e32 v[42:43], v[128:129], v[42:43]
	v_fma_f64 v[118:119], v[64:65], s[8:9], v[154:155]
	v_mul_f64_e32 v[34:35], s[36:37], v[34:35]
	v_add_f64_e32 v[112:113], v[146:147], v[120:121]
	v_mul_f64_e32 v[120:121], s[54:55], v[62:63]
	v_fma_f64 v[128:129], v[28:29], s[8:9], -v[158:159]
	v_fma_f64 v[140:141], v[28:29], s[8:9], v[158:159]
	v_fma_f64 v[146:147], v[64:65], s[40:41], v[66:67]
	v_mul_f64_e32 v[62:63], s[36:37], v[62:63]
	v_add_f64_e32 v[88:89], v[88:89], v[134:135]
	v_mul_f64_e32 v[134:135], s[42:43], v[58:59]
	v_add_f64_e32 v[96:97], v[96:97], v[132:133]
	;; [unrolled: 2-line block ×4, first 2 shown]
	v_add_f64_e32 v[122:123], v[152:153], v[122:123]
	v_fma_f64 v[136:137], v[64:65], s[8:9], -v[154:155]
	v_add_f64_e32 v[106:107], v[124:125], v[106:107]
	v_add_f64_e32 v[142:143], v[162:163], v[150:151]
	v_fma_f64 v[150:151], v[28:29], s[40:41], v[30:31]
	v_fma_f64 v[64:65], v[64:65], s[40:41], -v[66:67]
	v_add_f64_e32 v[2:3], v[18:19], v[2:3]
	v_fma_f64 v[28:29], v[28:29], s[40:41], -v[30:31]
	v_mul_f64_e32 v[18:19], s[58:59], v[58:59]
	v_add_f64_e32 v[0:1], v[98:99], v[0:1]
	v_mul_f64_e32 v[98:99], s[58:59], v[36:37]
	v_add_f64_e32 v[16:17], v[16:17], v[20:21]
	v_fma_f64 v[148:149], v[60:61], s[8:9], -v[160:161]
	v_add_f64_e32 v[68:69], v[68:69], v[168:169]
	v_fma_f64 v[20:21], v[60:61], s[6:7], v[24:25]
	v_fma_f64 v[24:25], v[60:61], s[6:7], -v[24:25]
	v_fma_f64 v[152:153], v[10:11], s[6:7], v[188:189]
	v_mul_f64_e32 v[30:31], s[38:39], v[54:55]
	v_add_f64_e32 v[26:27], v[50:51], v[26:27]
	v_add_f64_e32 v[100:101], v[182:183], v[100:101]
	;; [unrolled: 1-line block ×3, first 2 shown]
	v_mul_f64_e32 v[102:103], s[42:43], v[36:37]
	v_add_f64_e32 v[42:43], v[92:93], v[42:43]
	v_fma_f64 v[92:93], v[32:33], s[6:7], -v[104:105]
	v_fma_f64 v[104:105], v[32:33], s[6:7], v[104:105]
	v_add_f64_e32 v[112:113], v[116:117], v[112:113]
	v_fma_f64 v[116:117], v[60:61], s[40:41], v[120:121]
	v_fma_f64 v[120:121], v[60:61], s[40:41], -v[120:121]
	v_add_f64_e32 v[70:71], v[70:71], v[156:157]
	v_fma_f64 v[66:67], v[8:9], s[40:41], -v[132:133]
	v_add_f64_e32 v[90:91], v[118:119], v[90:91]
	v_mul_f64_e32 v[118:119], s[38:39], v[58:59]
	v_add_f64_e32 v[126:127], v[128:129], v[126:127]
	v_fma_f64 v[128:129], v[32:33], s[40:41], -v[130:131]
	v_add_f64_e32 v[122:123], v[136:137], v[122:123]
	v_mul_f64_e32 v[136:137], s[38:39], v[36:37]
	v_add_f64_e32 v[106:107], v[140:141], v[106:107]
	v_fma_f64 v[130:131], v[32:33], s[40:41], v[130:131]
	v_add_f64_e32 v[142:143], v[146:147], v[142:143]
	v_fma_f64 v[146:147], v[60:61], s[26:27], v[62:63]
	v_mul_f64_e32 v[58:59], s[24:25], v[58:59]
	v_mul_f64_e32 v[36:37], s[24:25], v[36:37]
	v_add_f64_e32 v[0:1], v[150:151], v[0:1]
	v_fma_f64 v[150:151], v[32:33], s[26:27], v[34:35]
	v_fma_f64 v[60:61], v[60:61], s[26:27], -v[62:63]
	v_add_f64_e32 v[2:3], v[64:65], v[2:3]
	v_mul_f64_e32 v[140:141], s[38:39], v[40:41]
	v_add_f64_e32 v[16:17], v[28:29], v[16:17]
	v_fma_f64 v[32:33], v[32:33], s[26:27], -v[34:35]
	v_mul_f64_e32 v[62:63], s[36:37], v[54:55]
	v_mul_f64_e32 v[64:65], s[36:37], v[40:41]
	v_add_f64_e32 v[114:115], v[148:149], v[114:115]
	v_fma_f64 v[148:149], v[56:57], s[26:27], v[18:19]
	v_add_f64_e32 v[20:21], v[20:21], v[68:69]
	v_mul_f64_e32 v[68:69], s[30:31], v[54:55]
	v_mul_f64_e32 v[28:29], s[30:31], v[40:41]
	v_add_f64_e32 v[42:43], v[92:93], v[42:43]
	v_fma_f64 v[92:93], v[10:11], s[34:35], -v[102:103]
	v_add_f64_e32 v[104:105], v[104:105], v[112:113]
	v_mul_f64_e32 v[112:113], s[24:25], v[40:41]
	v_fma_f64 v[102:103], v[10:11], s[34:35], v[102:103]
	v_fma_f64 v[18:19], v[56:57], s[26:27], -v[18:19]
	v_fma_f64 v[34:35], v[56:57], s[34:35], v[134:135]
	v_add_f64_e32 v[24:25], v[24:25], v[48:49]
	v_mul_f64_e32 v[48:49], s[24:25], v[54:55]
	v_fma_f64 v[134:135], v[56:57], s[34:35], -v[134:135]
	v_fma_f64 v[50:51], v[10:11], s[26:27], -v[98:99]
	v_fma_f64 v[98:99], v[10:11], s[26:27], v[98:99]
	v_add_f64_e32 v[90:91], v[116:117], v[90:91]
	v_fma_f64 v[116:117], v[56:57], s[28:29], v[118:119]
	v_fma_f64 v[118:119], v[56:57], s[28:29], -v[118:119]
	v_add_f64_e32 v[126:127], v[128:129], v[126:127]
	v_add_f64_e32 v[120:121], v[120:121], v[122:123]
	v_fma_f64 v[128:129], v[10:11], s[28:29], -v[136:137]
	v_fma_f64 v[122:123], v[10:11], s[28:29], v[136:137]
	v_add_f64_e32 v[106:107], v[130:131], v[106:107]
	v_mul_f64_e32 v[136:137], s[16:17], v[54:55]
	v_add_f64_e32 v[130:131], v[146:147], v[142:143]
	v_fma_f64 v[142:143], v[56:57], s[8:9], v[58:59]
	v_mul_f64_e32 v[146:147], s[16:17], v[40:41]
	v_fma_f64 v[56:57], v[56:57], s[8:9], -v[58:59]
	v_add_f64_e32 v[0:1], v[150:151], v[0:1]
	v_fma_f64 v[150:151], v[10:11], s[8:9], v[36:37]
	v_add_f64_e32 v[2:3], v[60:61], v[2:3]
	v_mul_f64_e32 v[54:55], s[10:11], v[54:55]
	v_mul_f64_e32 v[40:41], s[10:11], v[40:41]
	v_fma_f64 v[60:61], v[8:9], s[28:29], -v[140:141]
	v_add_f64_e32 v[32:33], v[32:33], v[16:17]
	v_fma_f64 v[36:37], v[10:11], s[8:9], -v[36:37]
	v_add_f64_e32 v[94:95], v[152:153], v[94:95]
	v_fma_f64 v[152:153], v[52:53], s[26:27], v[62:63]
	v_fma_f64 v[62:63], v[52:53], s[26:27], -v[62:63]
	v_fma_f64 v[154:155], v[8:9], s[26:27], -v[64:65]
	v_fma_f64 v[64:65], v[8:9], s[26:27], v[64:65]
	v_fma_f64 v[58:59], v[52:53], s[28:29], v[30:31]
	v_fma_f64 v[30:31], v[52:53], s[28:29], -v[30:31]
	v_fma_f64 v[156:157], v[8:9], s[18:19], -v[28:29]
	;; [unrolled: 1-line block ×3, first 2 shown]
	v_add_f64_e32 v[102:103], v[102:103], v[104:105]
	v_fma_f64 v[104:105], v[8:9], s[8:9], v[112:113]
	v_add_f64_e32 v[42:43], v[92:93], v[42:43]
	v_fma_f64 v[132:133], v[8:9], s[40:41], v[132:133]
	v_fma_f64 v[92:93], v[52:53], s[8:9], v[48:49]
	v_add_f64_e32 v[134:135], v[134:135], v[24:25]
	v_add_f64_e32 v[50:51], v[50:51], v[88:89]
	v_fma_f64 v[48:49], v[52:53], s[8:9], -v[48:49]
	v_fma_f64 v[88:89], v[52:53], s[18:19], v[68:69]
	v_add_f64_e32 v[90:91], v[116:117], v[90:91]
	v_add_f64_e32 v[114:115], v[18:19], v[114:115]
	;; [unrolled: 1-line block ×5, first 2 shown]
	v_fma_f64 v[68:69], v[52:53], s[18:19], -v[68:69]
	v_add_f64_e32 v[106:107], v[122:123], v[106:107]
	v_fma_f64 v[116:117], v[52:53], s[6:7], v[136:137]
	v_fma_f64 v[122:123], v[52:53], s[6:7], -v[136:137]
	v_add_f64_e32 v[126:127], v[142:143], v[130:131]
	v_fma_f64 v[120:121], v[8:9], s[6:7], -v[146:147]
	v_fma_f64 v[130:131], v[8:9], s[6:7], v[146:147]
	v_add_f64_e32 v[146:147], v[46:47], v[14:15]
	v_add_f64_e32 v[136:137], v[150:151], v[0:1]
	;; [unrolled: 1-line block ×3, first 2 shown]
	v_fma_f64 v[128:129], v[52:53], s[0:1], v[54:55]
	v_fma_f64 v[54:55], v[52:53], s[0:1], -v[54:55]
	v_add_f64_e32 v[56:57], v[56:57], v[2:3]
	v_fma_f64 v[142:143], v[8:9], s[0:1], v[40:41]
	v_fma_f64 v[158:159], v[8:9], s[18:19], v[28:29]
	;; [unrolled: 1-line block ×4, first 2 shown]
	v_fma_f64 v[144:145], v[52:53], s[40:41], -v[144:145]
	v_add_f64_e32 v[0:1], v[66:67], v[100:101]
	v_add_f64_e32 v[14:15], v[60:61], v[70:71]
	v_fma_f64 v[66:67], v[8:9], s[0:1], -v[40:41]
	v_add_f64_e32 v[70:71], v[36:37], v[32:33]
	v_add_f64_e32 v[28:29], v[62:63], v[74:75]
	v_mad_co_u64_u32 v[62:63], null, s12, v76, 0
	v_add_f64_e32 v[26:27], v[64:65], v[94:95]
	v_add_f64_e32 v[16:17], v[58:59], v[110:111]
	;; [unrolled: 1-line block ×6, first 2 shown]
	v_mov_b32_e32 v8, v63
	v_add_f64_e32 v[38:39], v[162:163], v[42:43]
	v_add_f64_e32 v[44:45], v[48:49], v[134:135]
	;; [unrolled: 1-line block ×3, first 2 shown]
	s_mul_u64 s[0:1], s[4:5], s[22:23]
	v_mad_co_u64_u32 v[63:64], null, s13, v76, v[8:9]
	v_mul_u32_u24_e32 v64, 17, v77
	s_wait_alu 0xfffe
	s_lshl_b64 s[0:1], s[0:1], 4
	v_add_f64_e32 v[10:11], v[132:133], v[72:73]
	v_add_f64_e32 v[52:53], v[122:123], v[118:119]
	s_wait_alu 0xfffe
	s_add_nc_u64 s[0:1], s[2:3], s[0:1]
	s_lshl_b64 s[2:3], s[20:21], 4
	v_add_f64_e32 v[50:51], v[130:131], v[106:107]
	v_add_f64_e32 v[60:61], v[146:147], v[6:7]
	v_lshlrev_b64_e32 v[62:63], 4, v[62:63]
	v_add_f64_e32 v[58:59], v[150:151], v[4:5]
	v_mul_lo_u32 v4, v64, s14
	v_mov_b32_e32 v5, 0
	v_add_f64_e32 v[56:57], v[54:55], v[56:57]
	v_add_f64_e32 v[54:55], v[142:143], v[136:137]
	s_wait_alu 0xfffe
	s_add_nc_u64 s[0:1], s[0:1], s[2:3]
	v_add_f64_e32 v[36:37], v[68:69], v[114:115]
	s_wait_alu 0xfffe
	v_add_co_u32 v72, vcc_lo, s0, v62
	v_lshlrev_b64_e32 v[64:65], 4, v[4:5]
	v_add_nc_u32_e32 v4, s14, v4
	s_wait_alu 0xfffd
	v_add_co_ci_u32_e32 v73, vcc_lo, s1, v63, vcc_lo
	v_add_f64_e32 v[34:35], v[158:159], v[98:99]
	v_add_f64_e32 v[18:19], v[140:141], v[86:87]
	v_lshlrev_b64_e32 v[62:63], 4, v[4:5]
	v_add_nc_u32_e32 v4, s14, v4
	v_add_f64_e32 v[12:13], v[144:145], v[138:139]
	v_add_f64_e32 v[6:7], v[66:67], v[70:71]
	v_add_co_u32 v64, vcc_lo, v72, v64
	s_delay_alu instid0(VALU_DEP_4)
	v_lshlrev_b64_e32 v[66:67], 4, v[4:5]
	v_add_nc_u32_e32 v4, s14, v4
	v_add_f64_e32 v[148:149], v[148:149], v[190:191]
	s_wait_alu 0xfffd
	v_add_co_ci_u32_e32 v65, vcc_lo, v73, v65, vcc_lo
	v_add_co_u32 v62, vcc_lo, v72, v62
	v_lshlrev_b64_e32 v[68:69], 4, v[4:5]
	v_add_nc_u32_e32 v4, s14, v4
	s_wait_alu 0xfffd
	v_add_co_ci_u32_e32 v63, vcc_lo, v73, v63, vcc_lo
	v_add_co_u32 v66, vcc_lo, v72, v66
	s_wait_alu 0xfffd
	v_add_co_ci_u32_e32 v67, vcc_lo, v73, v67, vcc_lo
	v_lshlrev_b64_e32 v[70:71], 4, v[4:5]
	v_add_nc_u32_e32 v4, s14, v4
	v_add_co_u32 v68, vcc_lo, v72, v68
	s_wait_alu 0xfffd
	v_add_co_ci_u32_e32 v69, vcc_lo, v73, v69, vcc_lo
	s_clause 0x3
	global_store_b128 v[64:65], v[58:61], off
	global_store_b128 v[62:63], v[54:57], off
	;; [unrolled: 1-line block ×4, first 2 shown]
	v_lshlrev_b64_e32 v[42:43], 4, v[4:5]
	v_add_nc_u32_e32 v4, s14, v4
	v_add_f64_e32 v[2:3], v[124:125], v[108:109]
	v_add_co_u32 v44, vcc_lo, v72, v70
	s_wait_alu 0xfffd
	v_add_co_ci_u32_e32 v45, vcc_lo, v73, v71, vcc_lo
	v_lshlrev_b64_e32 v[50:51], 4, v[4:5]
	v_add_nc_u32_e32 v4, s14, v4
	v_add_co_u32 v42, vcc_lo, v72, v42
	s_wait_alu 0xfffd
	v_add_co_ci_u32_e32 v43, vcc_lo, v73, v43, vcc_lo
	s_delay_alu instid0(VALU_DEP_3) | instskip(SKIP_4) | instid1(VALU_DEP_3)
	v_lshlrev_b64_e32 v[52:53], 4, v[4:5]
	v_add_nc_u32_e32 v4, s14, v4
	v_add_co_u32 v50, vcc_lo, v72, v50
	s_wait_alu 0xfffd
	v_add_co_ci_u32_e32 v51, vcc_lo, v73, v51, vcc_lo
	v_lshlrev_b64_e32 v[54:55], 4, v[4:5]
	v_add_nc_u32_e32 v4, s14, v4
	v_add_co_u32 v52, vcc_lo, v72, v52
	s_wait_alu 0xfffd
	v_add_co_ci_u32_e32 v53, vcc_lo, v73, v53, vcc_lo
	s_clause 0x3
	global_store_b128 v[44:45], v[34:37], off
	global_store_b128 v[42:43], v[26:29], off
	;; [unrolled: 1-line block ×4, first 2 shown]
	v_lshlrev_b64_e32 v[10:11], 4, v[4:5]
	v_add_nc_u32_e32 v4, s14, v4
	v_add_f64_e32 v[22:23], v[154:155], v[22:23]
	v_add_f64_e32 v[32:33], v[88:89], v[148:149]
	v_add_co_u32 v12, vcc_lo, v72, v54
	s_delay_alu instid0(VALU_DEP_4)
	v_lshlrev_b64_e32 v[18:19], 4, v[4:5]
	v_add_nc_u32_e32 v4, s14, v4
	v_add_f64_e32 v[40:41], v[92:93], v[160:161]
	v_add_f64_e32 v[48:49], v[116:117], v[90:91]
	;; [unrolled: 1-line block ×3, first 2 shown]
	s_wait_alu 0xfffd
	v_add_co_ci_u32_e32 v13, vcc_lo, v73, v55, vcc_lo
	v_add_f64_e32 v[8:9], v[128:129], v[126:127]
	v_add_co_u32 v10, vcc_lo, v72, v10
	v_lshlrev_b64_e32 v[20:21], 4, v[4:5]
	v_add_nc_u32_e32 v4, s14, v4
	s_wait_alu 0xfffd
	v_add_co_ci_u32_e32 v11, vcc_lo, v73, v11, vcc_lo
	v_add_co_u32 v18, vcc_lo, v72, v18
	s_wait_alu 0xfffd
	v_add_co_ci_u32_e32 v19, vcc_lo, v73, v19, vcc_lo
	v_lshlrev_b64_e32 v[26:27], 4, v[4:5]
	v_add_nc_u32_e32 v4, s14, v4
	v_add_co_u32 v20, vcc_lo, v72, v20
	s_wait_alu 0xfffd
	v_add_co_ci_u32_e32 v21, vcc_lo, v73, v21, vcc_lo
	s_clause 0x3
	global_store_b128 v[12:13], v[82:85], off
	global_store_b128 v[10:11], v[78:81], off
	;; [unrolled: 1-line block ×4, first 2 shown]
	v_lshlrev_b64_e32 v[0:1], 4, v[4:5]
	v_add_nc_u32_e32 v4, s14, v4
	v_add_co_u32 v2, vcc_lo, v72, v26
	s_wait_alu 0xfffd
	v_add_co_ci_u32_e32 v3, vcc_lo, v73, v27, vcc_lo
	s_delay_alu instid0(VALU_DEP_3) | instskip(SKIP_4) | instid1(VALU_DEP_3)
	v_lshlrev_b64_e32 v[10:11], 4, v[4:5]
	v_add_nc_u32_e32 v4, s14, v4
	v_add_co_u32 v0, vcc_lo, v72, v0
	s_wait_alu 0xfffd
	v_add_co_ci_u32_e32 v1, vcc_lo, v73, v1, vcc_lo
	v_lshlrev_b64_e32 v[12:13], 4, v[4:5]
	v_add_nc_u32_e32 v4, s14, v4
	v_add_co_u32 v10, vcc_lo, v72, v10
	s_wait_alu 0xfffd
	v_add_co_ci_u32_e32 v11, vcc_lo, v73, v11, vcc_lo
	s_delay_alu instid0(VALU_DEP_3) | instskip(SKIP_3) | instid1(VALU_DEP_3)
	v_lshlrev_b64_e32 v[4:5], 4, v[4:5]
	v_add_co_u32 v12, vcc_lo, v72, v12
	s_wait_alu 0xfffd
	v_add_co_ci_u32_e32 v13, vcc_lo, v73, v13, vcc_lo
	v_add_co_u32 v4, vcc_lo, v72, v4
	s_wait_alu 0xfffd
	v_add_co_ci_u32_e32 v5, vcc_lo, v73, v5, vcc_lo
	s_clause 0x4
	global_store_b128 v[2:3], v[22:25], off
	global_store_b128 v[0:1], v[30:33], off
	;; [unrolled: 1-line block ×5, first 2 shown]
.LBB0_18:
	s_nop 0
	s_sendmsg sendmsg(MSG_DEALLOC_VGPRS)
	s_endpgm
	.section	.rodata,"a",@progbits
	.p2align	6, 0x0
	.amdhsa_kernel fft_rtc_back_len17_factors_17_wgs_120_tpt_1_dp_op_CI_CI_sbrc_unaligned_dirReg
		.amdhsa_group_segment_fixed_size 0
		.amdhsa_private_segment_fixed_size 0
		.amdhsa_kernarg_size 104
		.amdhsa_user_sgpr_count 2
		.amdhsa_user_sgpr_dispatch_ptr 0
		.amdhsa_user_sgpr_queue_ptr 0
		.amdhsa_user_sgpr_kernarg_segment_ptr 1
		.amdhsa_user_sgpr_dispatch_id 0
		.amdhsa_user_sgpr_private_segment_size 0
		.amdhsa_wavefront_size32 1
		.amdhsa_uses_dynamic_stack 0
		.amdhsa_enable_private_segment 0
		.amdhsa_system_sgpr_workgroup_id_x 1
		.amdhsa_system_sgpr_workgroup_id_y 0
		.amdhsa_system_sgpr_workgroup_id_z 0
		.amdhsa_system_sgpr_workgroup_info 0
		.amdhsa_system_vgpr_workitem_id 0
		.amdhsa_next_free_vgpr 198
		.amdhsa_next_free_sgpr 62
		.amdhsa_reserve_vcc 1
		.amdhsa_float_round_mode_32 0
		.amdhsa_float_round_mode_16_64 0
		.amdhsa_float_denorm_mode_32 3
		.amdhsa_float_denorm_mode_16_64 3
		.amdhsa_fp16_overflow 0
		.amdhsa_workgroup_processor_mode 1
		.amdhsa_memory_ordered 1
		.amdhsa_forward_progress 0
		.amdhsa_round_robin_scheduling 0
		.amdhsa_exception_fp_ieee_invalid_op 0
		.amdhsa_exception_fp_denorm_src 0
		.amdhsa_exception_fp_ieee_div_zero 0
		.amdhsa_exception_fp_ieee_overflow 0
		.amdhsa_exception_fp_ieee_underflow 0
		.amdhsa_exception_fp_ieee_inexact 0
		.amdhsa_exception_int_div_zero 0
	.end_amdhsa_kernel
	.text
.Lfunc_end0:
	.size	fft_rtc_back_len17_factors_17_wgs_120_tpt_1_dp_op_CI_CI_sbrc_unaligned_dirReg, .Lfunc_end0-fft_rtc_back_len17_factors_17_wgs_120_tpt_1_dp_op_CI_CI_sbrc_unaligned_dirReg
                                        ; -- End function
	.section	.AMDGPU.csdata,"",@progbits
; Kernel info:
; codeLenInByte = 10148
; NumSgprs: 64
; NumVgprs: 198
; ScratchSize: 0
; MemoryBound: 0
; FloatMode: 240
; IeeeMode: 1
; LDSByteSize: 0 bytes/workgroup (compile time only)
; SGPRBlocks: 7
; VGPRBlocks: 24
; NumSGPRsForWavesPerEU: 64
; NumVGPRsForWavesPerEU: 198
; Occupancy: 7
; WaveLimiterHint : 1
; COMPUTE_PGM_RSRC2:SCRATCH_EN: 0
; COMPUTE_PGM_RSRC2:USER_SGPR: 2
; COMPUTE_PGM_RSRC2:TRAP_HANDLER: 0
; COMPUTE_PGM_RSRC2:TGID_X_EN: 1
; COMPUTE_PGM_RSRC2:TGID_Y_EN: 0
; COMPUTE_PGM_RSRC2:TGID_Z_EN: 0
; COMPUTE_PGM_RSRC2:TIDIG_COMP_CNT: 0
	.text
	.p2alignl 7, 3214868480
	.fill 96, 4, 3214868480
	.type	__hip_cuid_66c6b7a1511b0b2e,@object ; @__hip_cuid_66c6b7a1511b0b2e
	.section	.bss,"aw",@nobits
	.globl	__hip_cuid_66c6b7a1511b0b2e
__hip_cuid_66c6b7a1511b0b2e:
	.byte	0                               ; 0x0
	.size	__hip_cuid_66c6b7a1511b0b2e, 1

	.ident	"AMD clang version 19.0.0git (https://github.com/RadeonOpenCompute/llvm-project roc-6.4.0 25133 c7fe45cf4b819c5991fe208aaa96edf142730f1d)"
	.section	".note.GNU-stack","",@progbits
	.addrsig
	.addrsig_sym __hip_cuid_66c6b7a1511b0b2e
	.amdgpu_metadata
---
amdhsa.kernels:
  - .args:
      - .actual_access:  read_only
        .address_space:  global
        .offset:         0
        .size:           8
        .value_kind:     global_buffer
      - .offset:         8
        .size:           8
        .value_kind:     by_value
      - .actual_access:  read_only
        .address_space:  global
        .offset:         16
        .size:           8
        .value_kind:     global_buffer
      - .actual_access:  read_only
        .address_space:  global
        .offset:         24
        .size:           8
        .value_kind:     global_buffer
      - .actual_access:  read_only
        .address_space:  global
        .offset:         32
        .size:           8
        .value_kind:     global_buffer
      - .offset:         40
        .size:           8
        .value_kind:     by_value
      - .actual_access:  read_only
        .address_space:  global
        .offset:         48
        .size:           8
        .value_kind:     global_buffer
      - .actual_access:  read_only
        .address_space:  global
        .offset:         56
        .size:           8
        .value_kind:     global_buffer
      - .offset:         64
        .size:           4
        .value_kind:     by_value
      - .actual_access:  read_only
        .address_space:  global
        .offset:         72
        .size:           8
        .value_kind:     global_buffer
      - .actual_access:  read_only
        .address_space:  global
        .offset:         80
        .size:           8
        .value_kind:     global_buffer
      - .actual_access:  read_only
        .address_space:  global
        .offset:         88
        .size:           8
        .value_kind:     global_buffer
      - .actual_access:  write_only
        .address_space:  global
        .offset:         96
        .size:           8
        .value_kind:     global_buffer
    .group_segment_fixed_size: 0
    .kernarg_segment_align: 8
    .kernarg_segment_size: 104
    .language:       OpenCL C
    .language_version:
      - 2
      - 0
    .max_flat_workgroup_size: 120
    .name:           fft_rtc_back_len17_factors_17_wgs_120_tpt_1_dp_op_CI_CI_sbrc_unaligned_dirReg
    .private_segment_fixed_size: 0
    .sgpr_count:     64
    .sgpr_spill_count: 0
    .symbol:         fft_rtc_back_len17_factors_17_wgs_120_tpt_1_dp_op_CI_CI_sbrc_unaligned_dirReg.kd
    .uniform_work_group_size: 1
    .uses_dynamic_stack: false
    .vgpr_count:     198
    .vgpr_spill_count: 0
    .wavefront_size: 32
    .workgroup_processor_mode: 1
amdhsa.target:   amdgcn-amd-amdhsa--gfx1201
amdhsa.version:
  - 1
  - 2
...

	.end_amdgpu_metadata
